;; amdgpu-corpus repo=ROCm/rocFFT kind=compiled arch=gfx906 opt=O3
	.text
	.amdgcn_target "amdgcn-amd-amdhsa--gfx906"
	.amdhsa_code_object_version 6
	.protected	fft_rtc_fwd_len1782_factors_11_3_3_3_3_2_wgs_99_tpt_99_halfLds_half_op_CI_CI_unitstride_sbrr_R2C_dirReg ; -- Begin function fft_rtc_fwd_len1782_factors_11_3_3_3_3_2_wgs_99_tpt_99_halfLds_half_op_CI_CI_unitstride_sbrr_R2C_dirReg
	.globl	fft_rtc_fwd_len1782_factors_11_3_3_3_3_2_wgs_99_tpt_99_halfLds_half_op_CI_CI_unitstride_sbrr_R2C_dirReg
	.p2align	8
	.type	fft_rtc_fwd_len1782_factors_11_3_3_3_3_2_wgs_99_tpt_99_halfLds_half_op_CI_CI_unitstride_sbrr_R2C_dirReg,@function
fft_rtc_fwd_len1782_factors_11_3_3_3_3_2_wgs_99_tpt_99_halfLds_half_op_CI_CI_unitstride_sbrr_R2C_dirReg: ; @fft_rtc_fwd_len1782_factors_11_3_3_3_3_2_wgs_99_tpt_99_halfLds_half_op_CI_CI_unitstride_sbrr_R2C_dirReg
; %bb.0:
	s_load_dwordx4 s[8:11], s[4:5], 0x58
	s_load_dwordx4 s[12:15], s[4:5], 0x0
	;; [unrolled: 1-line block ×3, first 2 shown]
	v_mul_u32_u24_e32 v1, 0x296, v0
	v_mov_b32_e32 v3, 0
	v_mov_b32_e32 v8, 0
	s_waitcnt lgkmcnt(0)
	v_cmp_lt_u64_e64 s[0:1], s[14:15], 2
	v_add_u32_sdwa v10, s6, v1 dst_sel:DWORD dst_unused:UNUSED_PAD src0_sel:DWORD src1_sel:WORD_1
	v_mov_b32_e32 v11, v3
	s_and_b64 vcc, exec, s[0:1]
	v_mov_b32_e32 v9, 0
	s_cbranch_vccnz .LBB0_8
; %bb.1:
	s_load_dwordx2 s[0:1], s[4:5], 0x10
	s_add_u32 s2, s18, 8
	s_addc_u32 s3, s19, 0
	s_add_u32 s6, s16, 8
	s_addc_u32 s7, s17, 0
	v_mov_b32_e32 v8, 0
	s_waitcnt lgkmcnt(0)
	s_add_u32 s20, s0, 8
	v_mov_b32_e32 v9, 0
	v_mov_b32_e32 v1, v8
	s_addc_u32 s21, s1, 0
	s_mov_b64 s[22:23], 1
	v_mov_b32_e32 v2, v9
.LBB0_2:                                ; =>This Inner Loop Header: Depth=1
	s_load_dwordx2 s[24:25], s[20:21], 0x0
                                        ; implicit-def: $vgpr5_vgpr6
	s_waitcnt lgkmcnt(0)
	v_or_b32_e32 v4, s25, v11
	v_cmp_ne_u64_e32 vcc, 0, v[3:4]
	s_and_saveexec_b64 s[0:1], vcc
	s_xor_b64 s[26:27], exec, s[0:1]
	s_cbranch_execz .LBB0_4
; %bb.3:                                ;   in Loop: Header=BB0_2 Depth=1
	v_cvt_f32_u32_e32 v4, s24
	v_cvt_f32_u32_e32 v5, s25
	s_sub_u32 s0, 0, s24
	s_subb_u32 s1, 0, s25
	v_mac_f32_e32 v4, 0x4f800000, v5
	v_rcp_f32_e32 v4, v4
	v_mul_f32_e32 v4, 0x5f7ffffc, v4
	v_mul_f32_e32 v5, 0x2f800000, v4
	v_trunc_f32_e32 v5, v5
	v_mac_f32_e32 v4, 0xcf800000, v5
	v_cvt_u32_f32_e32 v5, v5
	v_cvt_u32_f32_e32 v4, v4
	v_mul_lo_u32 v6, s0, v5
	v_mul_hi_u32 v7, s0, v4
	v_mul_lo_u32 v13, s1, v4
	v_mul_lo_u32 v12, s0, v4
	v_add_u32_e32 v6, v7, v6
	v_add_u32_e32 v6, v6, v13
	v_mul_hi_u32 v7, v4, v12
	v_mul_lo_u32 v13, v4, v6
	v_mul_hi_u32 v15, v4, v6
	v_mul_hi_u32 v14, v5, v12
	v_mul_lo_u32 v12, v5, v12
	v_mul_hi_u32 v16, v5, v6
	v_add_co_u32_e32 v7, vcc, v7, v13
	v_addc_co_u32_e32 v13, vcc, 0, v15, vcc
	v_mul_lo_u32 v6, v5, v6
	v_add_co_u32_e32 v7, vcc, v7, v12
	v_addc_co_u32_e32 v7, vcc, v13, v14, vcc
	v_addc_co_u32_e32 v12, vcc, 0, v16, vcc
	v_add_co_u32_e32 v6, vcc, v7, v6
	v_addc_co_u32_e32 v7, vcc, 0, v12, vcc
	v_add_co_u32_e32 v4, vcc, v4, v6
	v_addc_co_u32_e32 v5, vcc, v5, v7, vcc
	v_mul_lo_u32 v6, s0, v5
	v_mul_hi_u32 v7, s0, v4
	v_mul_lo_u32 v12, s1, v4
	v_mul_lo_u32 v13, s0, v4
	v_add_u32_e32 v6, v7, v6
	v_add_u32_e32 v6, v6, v12
	v_mul_lo_u32 v14, v4, v6
	v_mul_hi_u32 v15, v4, v13
	v_mul_hi_u32 v16, v4, v6
	v_mul_hi_u32 v12, v5, v13
	v_mul_lo_u32 v13, v5, v13
	v_mul_hi_u32 v7, v5, v6
	v_add_co_u32_e32 v14, vcc, v15, v14
	v_addc_co_u32_e32 v15, vcc, 0, v16, vcc
	v_mul_lo_u32 v6, v5, v6
	v_add_co_u32_e32 v13, vcc, v14, v13
	v_addc_co_u32_e32 v12, vcc, v15, v12, vcc
	v_addc_co_u32_e32 v7, vcc, 0, v7, vcc
	v_add_co_u32_e32 v6, vcc, v12, v6
	v_addc_co_u32_e32 v7, vcc, 0, v7, vcc
	v_add_co_u32_e32 v6, vcc, v4, v6
	v_addc_co_u32_e32 v7, vcc, v5, v7, vcc
	v_mad_u64_u32 v[4:5], s[0:1], v10, v7, 0
	v_mul_hi_u32 v12, v10, v6
	v_add_co_u32_e32 v12, vcc, v12, v4
	v_addc_co_u32_e32 v13, vcc, 0, v5, vcc
	v_mad_u64_u32 v[4:5], s[0:1], v11, v6, 0
	v_mad_u64_u32 v[6:7], s[0:1], v11, v7, 0
	v_add_co_u32_e32 v4, vcc, v12, v4
	v_addc_co_u32_e32 v4, vcc, v13, v5, vcc
	v_addc_co_u32_e32 v5, vcc, 0, v7, vcc
	v_add_co_u32_e32 v7, vcc, v4, v6
	v_addc_co_u32_e32 v6, vcc, 0, v5, vcc
	v_mul_lo_u32 v12, s25, v7
	v_mul_lo_u32 v13, s24, v6
	v_mad_u64_u32 v[4:5], s[0:1], s24, v7, 0
	v_add3_u32 v5, v5, v13, v12
	v_sub_u32_e32 v12, v11, v5
	v_mov_b32_e32 v13, s25
	v_sub_co_u32_e32 v4, vcc, v10, v4
	v_subb_co_u32_e64 v12, s[0:1], v12, v13, vcc
	v_subrev_co_u32_e64 v13, s[0:1], s24, v4
	v_subbrev_co_u32_e64 v12, s[0:1], 0, v12, s[0:1]
	v_cmp_le_u32_e64 s[0:1], s25, v12
	v_cndmask_b32_e64 v14, 0, -1, s[0:1]
	v_cmp_le_u32_e64 s[0:1], s24, v13
	v_cndmask_b32_e64 v13, 0, -1, s[0:1]
	v_cmp_eq_u32_e64 s[0:1], s25, v12
	v_cndmask_b32_e64 v12, v14, v13, s[0:1]
	v_add_co_u32_e64 v13, s[0:1], 2, v7
	v_addc_co_u32_e64 v14, s[0:1], 0, v6, s[0:1]
	v_add_co_u32_e64 v15, s[0:1], 1, v7
	v_addc_co_u32_e64 v16, s[0:1], 0, v6, s[0:1]
	v_subb_co_u32_e32 v5, vcc, v11, v5, vcc
	v_cmp_ne_u32_e64 s[0:1], 0, v12
	v_cmp_le_u32_e32 vcc, s25, v5
	v_cndmask_b32_e64 v12, v16, v14, s[0:1]
	v_cndmask_b32_e64 v14, 0, -1, vcc
	v_cmp_le_u32_e32 vcc, s24, v4
	v_cndmask_b32_e64 v4, 0, -1, vcc
	v_cmp_eq_u32_e32 vcc, s25, v5
	v_cndmask_b32_e32 v4, v14, v4, vcc
	v_cmp_ne_u32_e32 vcc, 0, v4
	v_cndmask_b32_e64 v4, v15, v13, s[0:1]
	v_cndmask_b32_e32 v6, v6, v12, vcc
	v_cndmask_b32_e32 v5, v7, v4, vcc
.LBB0_4:                                ;   in Loop: Header=BB0_2 Depth=1
	s_andn2_saveexec_b64 s[0:1], s[26:27]
	s_cbranch_execz .LBB0_6
; %bb.5:                                ;   in Loop: Header=BB0_2 Depth=1
	v_cvt_f32_u32_e32 v4, s24
	s_sub_i32 s26, 0, s24
	v_rcp_iflag_f32_e32 v4, v4
	v_mul_f32_e32 v4, 0x4f7ffffe, v4
	v_cvt_u32_f32_e32 v4, v4
	v_mul_lo_u32 v5, s26, v4
	v_mul_hi_u32 v5, v4, v5
	v_add_u32_e32 v4, v4, v5
	v_mul_hi_u32 v4, v10, v4
	v_mul_lo_u32 v5, v4, s24
	v_add_u32_e32 v6, 1, v4
	v_sub_u32_e32 v5, v10, v5
	v_subrev_u32_e32 v7, s24, v5
	v_cmp_le_u32_e32 vcc, s24, v5
	v_cndmask_b32_e32 v5, v5, v7, vcc
	v_cndmask_b32_e32 v4, v4, v6, vcc
	v_add_u32_e32 v6, 1, v4
	v_cmp_le_u32_e32 vcc, s24, v5
	v_cndmask_b32_e32 v5, v4, v6, vcc
	v_mov_b32_e32 v6, v3
.LBB0_6:                                ;   in Loop: Header=BB0_2 Depth=1
	s_or_b64 exec, exec, s[0:1]
	v_mul_lo_u32 v4, v6, s24
	v_mul_lo_u32 v7, v5, s25
	v_mad_u64_u32 v[12:13], s[0:1], v5, s24, 0
	s_load_dwordx2 s[0:1], s[6:7], 0x0
	s_load_dwordx2 s[24:25], s[2:3], 0x0
	v_add3_u32 v4, v13, v7, v4
	v_sub_co_u32_e32 v7, vcc, v10, v12
	v_subb_co_u32_e32 v4, vcc, v11, v4, vcc
	s_waitcnt lgkmcnt(0)
	v_mul_lo_u32 v10, s0, v4
	v_mul_lo_u32 v11, s1, v7
	v_mad_u64_u32 v[8:9], s[0:1], s0, v7, v[8:9]
	s_add_u32 s22, s22, 1
	s_addc_u32 s23, s23, 0
	s_add_u32 s2, s2, 8
	v_mul_lo_u32 v4, s24, v4
	v_mul_lo_u32 v12, s25, v7
	v_mad_u64_u32 v[1:2], s[0:1], s24, v7, v[1:2]
	v_add3_u32 v9, v11, v9, v10
	s_addc_u32 s3, s3, 0
	v_mov_b32_e32 v10, s14
	s_add_u32 s6, s6, 8
	v_mov_b32_e32 v11, s15
	s_addc_u32 s7, s7, 0
	v_cmp_ge_u64_e32 vcc, s[22:23], v[10:11]
	s_add_u32 s20, s20, 8
	v_add3_u32 v2, v12, v2, v4
	s_addc_u32 s21, s21, 0
	s_cbranch_vccnz .LBB0_9
; %bb.7:                                ;   in Loop: Header=BB0_2 Depth=1
	v_mov_b32_e32 v11, v6
	v_mov_b32_e32 v10, v5
	s_branch .LBB0_2
.LBB0_8:
	v_mov_b32_e32 v1, v8
	v_mov_b32_e32 v5, v10
	;; [unrolled: 1-line block ×4, first 2 shown]
.LBB0_9:
	s_load_dwordx2 s[0:1], s[4:5], 0x28
	s_lshl_b64 s[6:7], s[14:15], 3
	s_add_u32 s2, s18, s6
	s_addc_u32 s3, s19, s7
                                        ; implicit-def: $vgpr3
                                        ; implicit-def: $vgpr7
	s_waitcnt lgkmcnt(0)
	v_cmp_gt_u64_e32 vcc, s[0:1], v[5:6]
	v_cmp_le_u64_e64 s[0:1], s[0:1], v[5:6]
	s_and_saveexec_b64 s[4:5], s[0:1]
	s_xor_b64 s[0:1], exec, s[4:5]
; %bb.10:
	s_mov_b32 s4, 0x295fad5
	v_mul_hi_u32 v3, v0, s4
                                        ; implicit-def: $vgpr8_vgpr9
	v_mul_u32_u24_e32 v3, 0x63, v3
	v_sub_u32_e32 v3, v0, v3
	v_add_u32_e32 v7, 0x63, v3
                                        ; implicit-def: $vgpr0
; %bb.11:
	s_andn2_saveexec_b64 s[4:5], s[0:1]
	s_cbranch_execz .LBB0_13
; %bb.12:
	s_add_u32 s0, s16, s6
	s_addc_u32 s1, s17, s7
	s_load_dwordx2 s[0:1], s[0:1], 0x0
	s_mov_b32 s6, 0x295fad5
	v_mul_hi_u32 v3, v0, s6
	s_waitcnt lgkmcnt(0)
	v_mul_lo_u32 v4, s1, v5
	v_mul_lo_u32 v7, s0, v6
	v_mad_u64_u32 v[10:11], s[0:1], s0, v5, 0
	v_mul_u32_u24_e32 v3, 0x63, v3
	v_sub_u32_e32 v3, v0, v3
	v_add3_u32 v11, v11, v7, v4
	v_lshlrev_b64 v[10:11], 2, v[10:11]
	v_mov_b32_e32 v0, s9
	v_add_co_u32_e64 v4, s[0:1], s8, v10
	v_lshlrev_b64 v[7:8], 2, v[8:9]
	v_addc_co_u32_e64 v0, s[0:1], v0, v11, s[0:1]
	v_add_co_u32_e64 v4, s[0:1], v4, v7
	v_addc_co_u32_e64 v0, s[0:1], v0, v8, s[0:1]
	v_lshlrev_b32_e32 v11, 2, v3
	v_add_co_u32_e64 v7, s[0:1], v4, v11
	v_addc_co_u32_e64 v8, s[0:1], 0, v0, s[0:1]
	s_movk_i32 s0, 0x1000
	v_add_co_u32_e64 v9, s[0:1], s0, v7
	global_load_dword v0, v[7:8], off
	global_load_dword v4, v[7:8], off offset:396
	global_load_dword v12, v[7:8], off offset:792
	;; [unrolled: 1-line block ×7, first 2 shown]
	v_addc_co_u32_e64 v10, s[0:1], 0, v8, s[0:1]
	global_load_dword v18, v[7:8], off offset:3168
	global_load_dword v19, v[7:8], off offset:3564
	global_load_dword v20, v[7:8], off offset:3960
	global_load_dword v21, v[9:10], off offset:260
	global_load_dword v22, v[9:10], off offset:656
	global_load_dword v23, v[9:10], off offset:1052
	global_load_dword v24, v[9:10], off offset:1448
	global_load_dword v25, v[9:10], off offset:1844
	global_load_dword v26, v[9:10], off offset:2240
	global_load_dword v27, v[9:10], off offset:2636
	v_add_u32_e32 v8, 0, v11
	v_add_u32_e32 v7, 0x63, v3
	;; [unrolled: 1-line block ×10, first 2 shown]
	s_waitcnt vmcnt(14)
	ds_write2_b32 v9, v12, v13 offset0:70 offset1:169
	ds_write2_b32 v8, v0, v4 offset1:99
	s_waitcnt vmcnt(12)
	ds_write2_b32 v10, v14, v15 offset0:140 offset1:239
	s_waitcnt vmcnt(10)
	ds_write2_b32 v11, v16, v17 offset0:82 offset1:181
	;; [unrolled: 2-line block ×7, first 2 shown]
.LBB0_13:
	s_or_b64 exec, exec, s[4:5]
	v_lshl_add_u32 v0, v3, 2, 0
	v_add_u32_e32 v36, 0x200, v0
	s_load_dwordx2 s[2:3], s[2:3], 0x0
	s_waitcnt lgkmcnt(0)
	s_barrier
	ds_read2_b32 v[8:9], v0 offset1:99
	ds_read2_b32 v[10:11], v36 offset0:34 offset1:133
	v_add_u32_e32 v4, 0x400, v0
	ds_read2_b32 v[12:13], v4 offset0:68 offset1:167
	v_add_u32_e32 v14, 0x600, v0
	;; [unrolled: 2-line block ×6, first 2 shown]
	s_waitcnt lgkmcnt(5)
	v_pk_add_f16 v37, v8, v10
	ds_read2_b32 v[22:23], v35 offset0:110 offset1:209
	v_add_u32_e32 v33, 0x1400, v0
	s_waitcnt lgkmcnt(5)
	v_pk_add_f16 v37, v37, v12
	ds_read2_b32 v[24:25], v33 offset0:16 offset1:115
	v_add_u32_e32 v32, 0x1600, v0
	v_add_u32_e32 v31, 0x1800, v0
	s_waitcnt lgkmcnt(5)
	v_pk_add_f16 v37, v37, v14
	ds_read2_b32 v[26:27], v32 offset0:50 offset1:149
	ds_read2_b32 v[28:29], v31 offset0:84 offset1:183
	s_waitcnt lgkmcnt(6)
	v_pk_add_f16 v37, v37, v16
	s_waitcnt lgkmcnt(5)
	v_pk_add_f16 v37, v37, v18
	;; [unrolled: 2-line block ×7, first 2 shown]
	v_pk_add_f16 v10, v10, v28 neg_lo:[0,1] neg_hi:[0,1]
	s_mov_b32 s18, 0xb853
	v_pk_add_f16 v37, v37, v28
	v_mul_f16_sdwa v28, v10, s18 dst_sel:DWORD dst_unused:UNUSED_PAD src0_sel:WORD_1 src1_sel:DWORD
	s_movk_i32 s8, 0x3abb
	v_fma_f16 v39, v38, s8, -v28
	s_mov_b32 s20, 0x3abb36a6
	v_add_f16_e32 v40, v8, v39
	v_pk_mul_f16 v39, v38, s20
	s_mov_b32 s21, 0xbb47b853
	v_pk_fma_f16 v42, v10, s21, v39 op_sel:[0,0,1] op_sel_hi:[1,1,0] neg_lo:[1,0,0] neg_hi:[1,0,0]
	v_pk_fma_f16 v39, v10, s21, v39 op_sel:[0,0,1] op_sel_hi:[1,1,0]
	s_mov_b32 s6, 0xffff
	v_bfi_b32 v43, s6, v39, v42
	v_lshrrev_b32_e32 v44, 16, v38
	v_mul_f16_e32 v45, 0xbb47, v10
	s_movk_i32 s14, 0x36a6
	v_alignbit_b32 v39, s0, v39, 16
	v_pk_add_f16 v47, v8, v39
	v_fma_f16 v39, v44, s14, -v45
	s_mov_b32 s9, 0xbbeb
	v_fma_f16 v46, v44, s14, v45
	v_add_f16_sdwa v45, v8, v39 dst_sel:DWORD dst_unused:UNUSED_PAD src0_sel:WORD_1 src1_sel:DWORD
	v_mul_f16_sdwa v39, v10, s9 dst_sel:DWORD dst_unused:UNUSED_PAD src0_sel:WORD_1 src1_sel:DWORD
	s_mov_b32 s15, 0xb08e
	v_fma_f16 v48, v38, s15, -v39
	v_mul_f16_e32 v49, 0xbbeb, v10
	v_fma_f16 v39, v38, s15, v39
	v_add_f16_e32 v51, v8, v39
	v_fma_f16 v39, v44, s15, -v49
	s_mov_b32 s16, 0xba0c
	v_fma_f16 v50, v44, s15, v49
	v_add_f16_sdwa v49, v8, v39 dst_sel:DWORD dst_unused:UNUSED_PAD src0_sel:WORD_1 src1_sel:DWORD
	v_mul_f16_sdwa v39, v10, s16 dst_sel:DWORD dst_unused:UNUSED_PAD src0_sel:WORD_1 src1_sel:DWORD
	s_mov_b32 s17, 0xb93d
	v_fma_f16 v52, v38, s17, -v39
	v_mul_f16_e32 v53, 0xba0c, v10
	v_fma_f16 v39, v38, s17, v39
	v_add_f16_e32 v55, v8, v39
	v_fma_f16 v39, v44, s17, -v53
	s_mov_b32 s19, 0xbb47
	v_fma_f16 v54, v44, s17, v53
	v_add_f16_sdwa v44, v8, v39 dst_sel:DWORD dst_unused:UNUSED_PAD src0_sel:WORD_1 src1_sel:DWORD
	v_pk_add_f16 v39, v26, v12
	v_pk_add_f16 v12, v12, v26 neg_lo:[0,1] neg_hi:[0,1]
	v_fma_f16 v28, v38, s8, v28
	v_mul_f16_sdwa v26, v12, s19 dst_sel:DWORD dst_unused:UNUSED_PAD src0_sel:WORD_1 src1_sel:DWORD
	v_add_f16_e32 v41, v8, v28
	v_fma_f16 v53, v39, s14, -v26
	v_fma_f16 v26, v39, s14, v26
	s_mov_b32 s24, 0x36a6b93d
	v_add_f16_e32 v41, v26, v41
	v_pk_mul_f16 v26, v39, s24
	s_mov_b32 s25, 0xba0cbb47
	v_pk_fma_f16 v56, v12, s25, v26 op_sel:[0,0,1] op_sel_hi:[1,1,0] neg_lo:[1,0,0] neg_hi:[1,0,0]
	v_pk_fma_f16 v26, v12, s25, v26 op_sel:[0,0,1] op_sel_hi:[1,1,0]
	v_pk_add_f16 v43, v8, v43 op_sel:[1,0] op_sel_hi:[0,1]
	v_add_f16_e32 v53, v53, v40
	v_bfi_b32 v40, s6, v26, v56
	v_pk_add_f16 v43, v40, v43
	v_lshrrev_b32_e32 v40, 16, v39
	v_mul_f16_e32 v57, 0xba0c, v12
	v_alignbit_b32 v26, s0, v26, 16
	v_pk_add_f16 v47, v26, v47
	v_fma_f16 v26, v40, s17, -v57
	s_movk_i32 s26, 0x3482
	v_add_f16_e32 v45, v26, v45
	v_mul_f16_sdwa v26, v12, s26 dst_sel:DWORD dst_unused:UNUSED_PAD src0_sel:WORD_1 src1_sel:DWORD
	s_mov_b32 s22, 0xbbad
	v_add_f16_e32 v48, v8, v48
	v_fma_f16 v58, v40, s17, v57
	v_fma_f16 v57, v39, s22, -v26
	v_add_f16_e32 v48, v57, v48
	v_mul_f16_e32 v57, 0x3482, v12
	v_fma_f16 v26, v39, s22, v26
	v_add_f16_e32 v51, v26, v51
	v_fma_f16 v26, v40, s22, -v57
	s_movk_i32 s27, 0x3beb
	v_add_f16_sdwa v46, v8, v46 dst_sel:DWORD dst_unused:UNUSED_PAD src0_sel:WORD_1 src1_sel:DWORD
	v_add_f16_e32 v49, v26, v49
	v_mul_f16_sdwa v26, v12, s27 dst_sel:DWORD dst_unused:UNUSED_PAD src0_sel:WORD_1 src1_sel:DWORD
	v_add_f16_e32 v52, v8, v52
	v_add_f16_e32 v46, v58, v46
	v_fma_f16 v58, v40, s22, v57
	v_fma_f16 v57, v39, s15, -v26
	v_add_f16_e32 v52, v57, v52
	v_mul_f16_e32 v57, 0x3beb, v12
	v_fma_f16 v26, v39, s15, v26
	v_add_f16_e32 v55, v26, v55
	v_fma_f16 v26, v40, s15, -v57
	v_add_f16_sdwa v50, v8, v50 dst_sel:DWORD dst_unused:UNUSED_PAD src0_sel:WORD_1 src1_sel:DWORD
	v_add_f16_e32 v44, v26, v44
	v_pk_add_f16 v26, v14, v24 neg_lo:[0,1] neg_hi:[0,1]
	v_add_f16_e32 v50, v58, v50
	v_fma_f16 v58, v40, s15, v57
	v_pk_add_f16 v40, v24, v14
	v_mul_f16_sdwa v14, v26, s9 dst_sel:DWORD dst_unused:UNUSED_PAD src0_sel:WORD_1 src1_sel:DWORD
	v_fma_f16 v24, v40, s15, -v14
	v_fma_f16 v14, v40, s15, v14
	s_mov_b32 s28, 0xb08ebbad
	v_add_f16_e32 v41, v14, v41
	v_pk_mul_f16 v14, v40, s28
	s_mov_b32 s29, 0x3482bbeb
	v_pk_fma_f16 v57, v26, s29, v14 op_sel:[0,0,1] op_sel_hi:[1,1,0] neg_lo:[1,0,0] neg_hi:[1,0,0]
	v_pk_fma_f16 v14, v26, s29, v14 op_sel:[0,0,1] op_sel_hi:[1,1,0]
	v_add_f16_sdwa v54, v8, v54 dst_sel:DWORD dst_unused:UNUSED_PAD src0_sel:WORD_1 src1_sel:DWORD
	v_add_f16_e32 v53, v24, v53
	v_bfi_b32 v24, s6, v14, v57
	v_add_f16_e32 v54, v58, v54
	v_pk_add_f16 v43, v24, v43
	v_lshrrev_b32_e32 v58, 16, v40
	v_mul_f16_e32 v24, 0x3482, v26
	v_fma_f16 v59, v58, s22, v24
	v_fma_f16 v24, v58, s22, -v24
	s_movk_i32 s23, 0x3b47
	v_alignbit_b32 v14, s0, v14, 16
	v_add_f16_e32 v45, v24, v45
	v_mul_f16_sdwa v24, v26, s23 dst_sel:DWORD dst_unused:UNUSED_PAD src0_sel:WORD_1 src1_sel:DWORD
	v_pk_add_f16 v14, v14, v47
	v_fma_f16 v47, v40, s14, -v24
	v_add_f16_e32 v47, v47, v48
	v_mul_f16_e32 v48, 0x3b47, v26
	v_fma_f16 v24, v40, s14, v24
	v_add_f16_e32 v46, v59, v46
	v_fma_f16 v59, v58, s14, v48
	v_add_f16_e32 v51, v24, v51
	v_fma_f16 v24, v58, s14, -v48
	v_mul_f16_sdwa v48, v26, s18 dst_sel:DWORD dst_unused:UNUSED_PAD src0_sel:WORD_1 src1_sel:DWORD
	v_add_f16_e32 v24, v24, v49
	v_fma_f16 v49, v40, s8, -v48
	v_add_f16_e32 v49, v49, v52
	v_mul_f16_e32 v52, 0xb853, v26
	v_add_f16_e32 v50, v59, v50
	v_fma_f16 v59, v58, s8, v52
	v_fma_f16 v52, v58, s8, -v52
	v_add_f16_e32 v44, v52, v44
	v_pk_add_f16 v52, v22, v16
	v_pk_add_f16 v22, v16, v22 neg_lo:[0,1] neg_hi:[0,1]
	v_fma_f16 v48, v40, s8, v48
	v_mul_f16_sdwa v16, v22, s16 dst_sel:DWORD dst_unused:UNUSED_PAD src0_sel:WORD_1 src1_sel:DWORD
	v_add_f16_e32 v48, v48, v55
	v_fma_f16 v55, v52, s17, -v16
	v_fma_f16 v16, v52, s17, v16
	s_mov_b32 s31, 0xb93db08e
	v_add_f16_e32 v41, v16, v41
	v_pk_mul_f16 v16, v52, s31
	s_mov_b32 s33, 0x3bebba0c
	v_add_f16_e32 v53, v55, v53
	v_pk_fma_f16 v55, v22, s33, v16 op_sel:[0,0,1] op_sel_hi:[1,1,0] neg_lo:[1,0,0] neg_hi:[1,0,0]
	v_pk_fma_f16 v16, v22, s33, v16 op_sel:[0,0,1] op_sel_hi:[1,1,0]
	v_bfi_b32 v58, s6, v16, v55
	v_add_f16_e32 v54, v59, v54
	v_pk_add_f16 v43, v58, v43
	v_lshrrev_b32_e32 v58, 16, v52
	v_mul_f16_e32 v59, 0x3beb, v22
	v_fma_f16 v60, v58, s15, v59
	v_fma_f16 v59, v58, s15, -v59
	v_add_f16_e32 v45, v59, v45
	v_mul_f16_sdwa v59, v22, s18 dst_sel:DWORD dst_unused:UNUSED_PAD src0_sel:WORD_1 src1_sel:DWORD
	v_add_f16_e32 v46, v60, v46
	v_fma_f16 v60, v52, s8, -v59
	v_add_f16_e32 v47, v60, v47
	v_mul_f16_e32 v60, 0xb853, v22
	v_fma_f16 v59, v52, s8, v59
	s_mov_b32 s30, 0xb482
	v_fma_f16 v61, v58, s8, v60
	v_add_f16_e32 v51, v59, v51
	v_fma_f16 v59, v58, s8, -v60
	v_mul_f16_sdwa v60, v22, s30 dst_sel:DWORD dst_unused:UNUSED_PAD src0_sel:WORD_1 src1_sel:DWORD
	v_add_f16_e32 v50, v61, v50
	v_fma_f16 v61, v52, s22, -v60
	v_add_f16_e32 v49, v61, v49
	v_mul_f16_e32 v61, 0xb482, v22
	v_fma_f16 v62, v58, s22, v61
	v_fma_f16 v58, v58, s22, -v61
	v_add_f16_e32 v44, v58, v44
	v_pk_add_f16 v58, v20, v18
	v_pk_add_f16 v18, v18, v20 neg_lo:[0,1] neg_hi:[0,1]
	v_fma_f16 v60, v52, s22, v60
	v_mul_f16_sdwa v20, v18, s30 dst_sel:DWORD dst_unused:UNUSED_PAD src0_sel:WORD_1 src1_sel:DWORD
	v_add_f16_sdwa v42, v8, v42 dst_sel:DWORD dst_unused:UNUSED_PAD src0_sel:WORD_1 src1_sel:DWORD
	v_add_f16_e32 v48, v60, v48
	v_fma_f16 v60, v58, s22, -v20
	v_fma_f16 v20, v58, s22, v20
	s_mov_b32 s35, 0xbbad3abb
	v_add_f16_e32 v42, v56, v42
	v_add_f16_e32 v20, v20, v41
	v_pk_mul_f16 v41, v58, s35
	s_mov_b32 s36, 0x3853b482
	v_add_f16_e32 v42, v57, v42
	v_pk_fma_f16 v61, v18, s36, v41 op_sel:[0,0,1] op_sel_hi:[1,1,0] neg_lo:[1,0,0] neg_hi:[1,0,0]
	v_add_f16_e32 v42, v55, v42
	v_pk_fma_f16 v55, v18, s36, v41 op_sel:[0,0,1] op_sel_hi:[1,1,0]
	v_bfi_b32 v55, s6, v55, v61
	v_pk_add_f16 v43, v55, v43
	v_lshrrev_b32_e32 v55, 16, v58
	v_mul_f16_e32 v56, 0x3853, v18
	v_fma_f16 v57, v55, s8, v56
	v_fma_f16 v56, v55, s8, -v56
	v_add_f16_e32 v45, v56, v45
	v_mul_f16_sdwa v56, v18, s16 dst_sel:DWORD dst_unused:UNUSED_PAD src0_sel:WORD_1 src1_sel:DWORD
	v_add_f16_e32 v46, v57, v46
	v_fma_f16 v57, v58, s17, -v56
	v_add_f16_e32 v47, v57, v47
	v_mul_f16_e32 v57, 0xb93d, v55
	v_fma_f16 v56, v58, s17, v56
	v_add_f16_e32 v54, v62, v54
	v_fma_f16 v62, v18, s16, v57
	v_add_f16_e32 v51, v56, v51
	v_mul_f16_sdwa v56, v18, s23 dst_sel:DWORD dst_unused:UNUSED_PAD src0_sel:WORD_1 src1_sel:DWORD
	v_add_f16_e32 v50, v62, v50
	v_fma_f16 v62, v58, s14, -v56
	v_add_f16_e32 v49, v62, v49
	v_mul_f16_e32 v62, 0x3b47, v18
	v_add_f16_e32 v53, v60, v53
	v_fma_f16 v63, v55, s14, v62
	v_mad_u32_u24 v30, v3, 40, v0
	v_add_f16_e32 v54, v63, v54
	v_alignbit_b32 v46, v46, v43, 16
	v_pack_b32_f16 v43, v53, v43
	s_barrier
	ds_write2_b32 v30, v43, v46 offset0:1 offset1:2
	v_pack_b32_f16 v43, v49, v54
	v_pack_b32_f16 v46, v47, v50
	v_pk_mul_f16 v38, v38, s22 op_sel_hi:[1,0]
	ds_write2_b32 v30, v46, v43 offset0:3 offset1:4
	v_pk_fma_f16 v43, v10, s30, v38 op_sel:[0,0,1] op_sel_hi:[1,0,0] neg_lo:[1,0,0] neg_hi:[1,0,0]
	v_alignbit_b32 v28, s0, v8, 16
	v_alignbit_b32 v46, s0, v43, 16
	v_pk_fma_f16 v10, v10, s30, v38 op_sel:[0,0,1] op_sel_hi:[1,0,0]
	s_movk_i32 s34, 0x3853
	v_pk_add_f16 v46, v8, v46
	v_pk_add_f16 v8, v8, v10 op_sel:[1,0] op_sel_hi:[0,1]
	v_pk_add_f16 v10, v28, v43
	v_pk_mul_f16 v28, v39, s8 op_sel_hi:[1,0]
	v_pk_fma_f16 v38, v12, s34, v28 op_sel:[0,0,1] op_sel_hi:[1,0,0] neg_lo:[1,0,0] neg_hi:[1,0,0]
	v_pk_fma_f16 v12, v12, s34, v28 op_sel:[0,0,1] op_sel_hi:[1,0,0]
	v_pk_add_f16 v8, v12, v8
	v_pk_mul_f16 v12, v40, s17 op_sel_hi:[1,0]
	v_pk_fma_f16 v28, v26, s16, v12 op_sel:[0,0,1] op_sel_hi:[1,0,0] neg_lo:[1,0,0] neg_hi:[1,0,0]
	v_pk_fma_f16 v12, v26, s16, v12 op_sel:[0,0,1] op_sel_hi:[1,0,0]
	v_pk_add_f16 v8, v12, v8
	v_pk_mul_f16 v12, v52, s14 op_sel_hi:[1,0]
	v_alignbit_b32 v39, s0, v38, 16
	v_pk_fma_f16 v26, v22, s23, v12 op_sel:[0,0,1] op_sel_hi:[1,0,0] neg_lo:[1,0,0] neg_hi:[1,0,0]
	v_pk_fma_f16 v12, v22, s23, v12 op_sel:[0,0,1] op_sel_hi:[1,0,0]
	v_pk_add_f16 v39, v39, v46
	v_pk_add_f16 v10, v38, v10
	v_alignbit_b32 v38, s0, v28, 16
	v_pk_add_f16 v8, v12, v8
	v_pk_mul_f16 v12, v58, s15 op_sel_hi:[1,0]
	v_pk_add_f16 v38, v38, v39
	v_pk_add_f16 v10, v28, v10
	v_alignbit_b32 v28, s0, v26, 16
	v_pk_fma_f16 v22, v18, s9, v12 op_sel:[0,0,1] op_sel_hi:[1,0,0] neg_lo:[1,0,0] neg_hi:[1,0,0]
	v_pk_add_f16 v28, v28, v38
	v_pk_add_f16 v10, v26, v10
	v_alignbit_b32 v26, s0, v22, 16
	v_pk_fma_f16 v12, v18, s9, v12 op_sel:[0,0,1] op_sel_hi:[1,0,0]
	v_fma_f16 v56, v58, s14, v56
	v_fma_f16 v55, v55, s14, -v62
	v_pk_add_f16 v26, v26, v28
	v_pk_add_f16 v8, v12, v8
	;; [unrolled: 1-line block ×3, first 2 shown]
	v_add_f16_e32 v48, v56, v48
	v_add_f16_e32 v44, v55, v44
	v_alignbit_b32 v10, v10, v8, 16
	v_pack_b32_f16 v8, v26, v8
	v_pk_mul_f16 v60, v18, s36
	ds_write2_b32 v30, v8, v10 offset0:5 offset1:6
	v_pack_b32_f16 v8, v48, v44
	ds_write2_b32 v30, v37, v8 offset1:7
	v_pack_b32_f16 v8, v59, v41
	v_bfi_b32 v10, s6, v24, v60
	v_add_f16_e32 v42, v61, v42
	v_mul_f16_e32 v61, 0xba0c, v18
	v_pk_add_f16 v8, v8, v10
	v_lshlrev_b32_e32 v10, 16, v14
	v_pk_add_f16 v12, v57, v61 neg_lo:[0,1] neg_hi:[0,1]
	v_pk_add_f16 v10, v16, v10
	v_bfi_b32 v10, s6, v12, v10
	v_pk_add_f16 v8, v10, v8
	v_alignbit_b32 v10, v45, v8, 16
	v_pack_b32_f16 v8, v51, v8
	s_movk_i32 s7, 0x1000
	ds_write2_b32 v30, v8, v10 offset0:8 offset1:9
	v_pack_b32_f16 v8, v20, v42
	v_cmp_gt_u32_e64 s[0:1], 63, v3
	ds_write_b32 v30, v8 offset:40
	s_and_saveexec_b64 s[4:5], s[0:1]
	s_cbranch_execz .LBB0_15
; %bb.14:
	v_pk_add_f16 v8, v9, v11
	v_pk_add_f16 v8, v8, v13
	;; [unrolled: 1-line block ×7, first 2 shown]
	v_pk_add_f16 v11, v11, v29 neg_lo:[0,1] neg_hi:[0,1]
	v_pk_add_f16 v8, v8, v23
	v_pk_add_f16 v14, v27, v13
	v_pk_add_f16 v13, v13, v27 neg_lo:[0,1] neg_hi:[0,1]
	v_pk_add_f16 v20, v21, v19
	v_pk_add_f16 v19, v19, v21 neg_lo:[0,1] neg_hi:[0,1]
	v_mul_f16_e32 v21, 0xba0c, v11
	v_lshrrev_b32_e32 v22, 16, v12
	v_pk_add_f16 v8, v8, v25
	v_pk_add_f16 v16, v25, v15
	v_pk_add_f16 v15, v15, v25 neg_lo:[0,1] neg_hi:[0,1]
	v_pk_add_f16 v18, v23, v17
	v_pk_add_f16 v17, v17, v23 neg_lo:[0,1] neg_hi:[0,1]
	v_fma_f16 v23, v22, s17, v21
	v_mul_f16_e32 v24, 0x3beb, v13
	v_lshrrev_b32_e32 v25, 16, v14
	v_add_f16_sdwa v23, v9, v23 dst_sel:DWORD dst_unused:UNUSED_PAD src0_sel:WORD_1 src1_sel:DWORD
	v_fma_f16 v26, v25, s15, v24
	v_pk_add_f16 v8, v8, v27
	v_add_f16_e32 v23, v26, v23
	v_mul_f16_e32 v26, 0xb853, v15
	v_lshrrev_b32_e32 v27, 16, v16
	v_fma_f16 v28, v27, s8, v26
	v_pk_add_f16 v8, v8, v29
	v_add_f16_e32 v23, v28, v23
	v_mul_f16_e32 v28, 0xb482, v17
	v_lshrrev_b32_e32 v29, 16, v18
	v_fma_f16 v37, v29, s22, v28
	v_add_f16_e32 v23, v37, v23
	v_mul_f16_e32 v37, 0x3b47, v19
	v_lshrrev_b32_e32 v38, 16, v20
	v_fma_f16 v39, v38, s14, v37
	v_add_f16_e32 v23, v39, v23
	v_mul_f16_sdwa v39, v11, s16 dst_sel:DWORD dst_unused:UNUSED_PAD src0_sel:WORD_1 src1_sel:DWORD
	v_fma_f16 v40, v12, s17, -v39
	v_mul_f16_sdwa v41, v13, s27 dst_sel:DWORD dst_unused:UNUSED_PAD src0_sel:WORD_1 src1_sel:DWORD
	v_add_f16_e32 v40, v9, v40
	v_fma_f16 v42, v14, s15, -v41
	v_add_f16_e32 v40, v42, v40
	v_mul_f16_sdwa v42, v15, s18 dst_sel:DWORD dst_unused:UNUSED_PAD src0_sel:WORD_1 src1_sel:DWORD
	v_fma_f16 v43, v16, s8, -v42
	v_add_f16_e32 v40, v43, v40
	v_mul_f16_sdwa v43, v17, s30 dst_sel:DWORD dst_unused:UNUSED_PAD src0_sel:WORD_1 src1_sel:DWORD
	;; [unrolled: 3-line block ×3, first 2 shown]
	v_fma_f16 v45, v20, s14, -v44
	v_add_f16_e32 v40, v45, v40
	v_mul_f16_e32 v45, 0xbbeb, v11
	v_fma_f16 v46, v22, s15, v45
	v_mul_f16_e32 v47, 0x3482, v13
	v_add_f16_sdwa v46, v9, v46 dst_sel:DWORD dst_unused:UNUSED_PAD src0_sel:WORD_1 src1_sel:DWORD
	v_fma_f16 v48, v25, s22, v47
	v_add_f16_e32 v46, v48, v46
	v_mul_f16_e32 v48, 0x3b47, v15
	v_fma_f16 v49, v27, s14, v48
	v_add_f16_e32 v46, v49, v46
	v_mul_f16_e32 v49, 0xb853, v17
	v_fma_f16 v50, v29, s8, v49
	v_mul_f16_e32 v51, 0xb93d, v38
	v_add_f16_e32 v46, v50, v46
	v_fma_f16 v52, v19, s16, v51
	v_add_f16_e32 v46, v52, v46
	v_mul_f16_sdwa v52, v11, s9 dst_sel:DWORD dst_unused:UNUSED_PAD src0_sel:WORD_1 src1_sel:DWORD
	v_fma_f16 v53, v12, s15, -v52
	v_mul_f16_sdwa v54, v13, s26 dst_sel:DWORD dst_unused:UNUSED_PAD src0_sel:WORD_1 src1_sel:DWORD
	v_add_f16_e32 v53, v9, v53
	v_fma_f16 v55, v14, s22, -v54
	v_add_f16_e32 v53, v55, v53
	v_mul_f16_sdwa v55, v15, s23 dst_sel:DWORD dst_unused:UNUSED_PAD src0_sel:WORD_1 src1_sel:DWORD
	v_fma_f16 v56, v16, s14, -v55
	v_add_f16_e32 v53, v56, v53
	v_mul_f16_sdwa v56, v17, s18 dst_sel:DWORD dst_unused:UNUSED_PAD src0_sel:WORD_1 src1_sel:DWORD
	;; [unrolled: 3-line block ×3, first 2 shown]
	v_fma_f16 v58, v20, s17, -v57
	v_add_f16_e32 v53, v58, v53
	v_mul_f16_e32 v58, 0xbb47, v11
	v_fma_f16 v59, v22, s14, v58
	v_mul_f16_e32 v60, 0xba0c, v13
	v_add_f16_sdwa v59, v9, v59 dst_sel:DWORD dst_unused:UNUSED_PAD src0_sel:WORD_1 src1_sel:DWORD
	v_fma_f16 v61, v25, s17, v60
	v_add_f16_e32 v59, v61, v59
	v_mul_f16_e32 v61, 0x3482, v15
	v_fma_f16 v62, v27, s22, v61
	v_add_f16_e32 v59, v62, v59
	v_mul_f16_e32 v62, 0x3beb, v17
	;; [unrolled: 3-line block ×3, first 2 shown]
	v_fma_f16 v64, v38, s8, v63
	v_add_f16_e32 v59, v64, v59
	v_pk_mul_f16 v64, v12, s20
	v_pk_fma_f16 v65, v11, s21, v64 op_sel:[0,0,1] op_sel_hi:[1,1,0]
	v_pk_fma_f16 v64, v11, s21, v64 op_sel:[0,0,1] op_sel_hi:[1,1,0] neg_lo:[1,0,0] neg_hi:[1,0,0]
	v_pk_mul_f16 v67, v14, s24
	v_bfi_b32 v66, s6, v65, v64
	v_pk_fma_f16 v68, v13, s25, v67 op_sel:[0,0,1] op_sel_hi:[1,1,0]
	v_pk_fma_f16 v67, v13, s25, v67 op_sel:[0,0,1] op_sel_hi:[1,1,0] neg_lo:[1,0,0] neg_hi:[1,0,0]
	v_fma_f16 v21, v22, s17, -v21
	v_pk_add_f16 v66, v9, v66 op_sel:[1,0] op_sel_hi:[0,1]
	v_bfi_b32 v69, s6, v68, v67
	v_add_f16_sdwa v21, v9, v21 dst_sel:DWORD dst_unused:UNUSED_PAD src0_sel:WORD_1 src1_sel:DWORD
	v_fma_f16 v24, v25, s15, -v24
	v_pk_add_f16 v66, v69, v66
	v_pk_mul_f16 v69, v16, s28
	v_add_f16_e32 v21, v24, v21
	v_fma_f16 v24, v27, s8, -v26
	v_pk_fma_f16 v70, v15, s29, v69 op_sel:[0,0,1] op_sel_hi:[1,1,0]
	v_pk_fma_f16 v69, v15, s29, v69 op_sel:[0,0,1] op_sel_hi:[1,1,0] neg_lo:[1,0,0] neg_hi:[1,0,0]
	v_add_f16_e32 v21, v24, v21
	v_fma_f16 v24, v29, s22, -v28
	v_bfi_b32 v71, s6, v70, v69
	v_add_f16_e32 v21, v24, v21
	v_fma_f16 v24, v38, s14, -v37
	v_pk_add_f16 v66, v71, v66
	v_pk_mul_f16 v71, v18, s31
	v_add_f16_e32 v21, v24, v21
	v_fma_f16 v24, v12, s17, v39
	v_pk_fma_f16 v72, v17, s33, v71 op_sel:[0,0,1] op_sel_hi:[1,1,0]
	v_pk_fma_f16 v71, v17, s33, v71 op_sel:[0,0,1] op_sel_hi:[1,1,0] neg_lo:[1,0,0] neg_hi:[1,0,0]
	v_pk_mul_f16 v74, v20, s35
	v_add_f16_e32 v24, v9, v24
	v_fma_f16 v26, v14, s15, v41
	v_bfi_b32 v73, s6, v72, v71
	v_pk_fma_f16 v75, v19, s36, v74 op_sel:[0,0,1] op_sel_hi:[1,1,0]
	v_pk_fma_f16 v76, v19, s36, v74 op_sel:[0,0,1] op_sel_hi:[1,1,0] neg_lo:[1,0,0] neg_hi:[1,0,0]
	v_add_f16_e32 v24, v26, v24
	v_fma_f16 v26, v16, s8, v42
	v_pk_add_f16 v66, v73, v66
	v_bfi_b32 v75, s6, v75, v76
	v_add_f16_e32 v24, v26, v24
	v_fma_f16 v26, v18, s22, v43
	v_pk_add_f16 v66, v75, v66
	v_mul_f16_sdwa v75, v11, s18 dst_sel:DWORD dst_unused:UNUSED_PAD src0_sel:WORD_1 src1_sel:DWORD
	v_add_f16_e32 v24, v26, v24
	v_fma_f16 v26, v20, s14, v44
	v_fma_f16 v77, v12, s8, -v75
	v_mul_f16_sdwa v78, v13, s19 dst_sel:DWORD dst_unused:UNUSED_PAD src0_sel:WORD_1 src1_sel:DWORD
	v_add_f16_e32 v24, v26, v24
	v_fma_f16 v26, v22, s15, -v45
	v_fma_f16 v37, v12, s15, v52
	v_fma_f16 v22, v22, s14, -v58
	v_add_f16_e32 v77, v9, v77
	v_fma_f16 v79, v14, s14, -v78
	v_fma_f16 v28, v25, s22, -v47
	v_add_f16_e32 v37, v9, v37
	v_fma_f16 v39, v14, s22, v54
	v_add_f16_sdwa v22, v9, v22 dst_sel:DWORD dst_unused:UNUSED_PAD src0_sel:WORD_1 src1_sel:DWORD
	v_fma_f16 v25, v25, s17, -v60
	v_add_f16_e32 v77, v79, v77
	v_mul_f16_sdwa v79, v15, s9 dst_sel:DWORD dst_unused:UNUSED_PAD src0_sel:WORD_1 src1_sel:DWORD
	v_add_f16_e32 v37, v39, v37
	v_fma_f16 v39, v16, s14, v55
	v_add_f16_e32 v22, v25, v22
	v_fma_f16 v25, v27, s22, -v61
	v_fma_f16 v80, v16, s15, -v79
	v_add_f16_e32 v37, v39, v37
	v_fma_f16 v39, v18, s8, v56
	v_add_f16_e32 v22, v25, v22
	v_fma_f16 v25, v29, s15, -v62
	v_add_f16_e32 v77, v80, v77
	v_mul_f16_sdwa v80, v17, s16 dst_sel:DWORD dst_unused:UNUSED_PAD src0_sel:WORD_1 src1_sel:DWORD
	v_add_f16_e32 v37, v39, v37
	v_fma_f16 v39, v20, s17, v57
	v_add_f16_e32 v22, v25, v22
	v_fma_f16 v25, v38, s8, -v63
	v_fma_f16 v38, v12, s8, v75
	v_fma_f16 v81, v18, s17, -v80
	v_add_f16_e32 v37, v39, v37
	v_add_f16_e32 v38, v9, v38
	v_fma_f16 v39, v14, s14, v78
	v_add_f16_e32 v77, v81, v77
	v_mul_f16_sdwa v81, v19, s30 dst_sel:DWORD dst_unused:UNUSED_PAD src0_sel:WORD_1 src1_sel:DWORD
	v_add_f16_e32 v38, v39, v38
	v_fma_f16 v39, v16, s15, v79
	v_fma_f16 v82, v20, s22, -v81
	v_add_f16_e32 v38, v39, v38
	v_fma_f16 v39, v18, s17, v80
	v_add_f16_e32 v77, v82, v77
	v_add_f16_e32 v38, v39, v38
	v_fma_f16 v39, v20, s22, v81
	v_mad_i32_i24 v10, v7, 44, 0
	v_add_f16_e32 v38, v39, v38
	v_alignbit_b32 v39, v59, v66, 16
	v_pack_b32_f16 v41, v77, v66
	ds_write2_b32 v10, v41, v39 offset0:1 offset1:2
	v_pack_b32_f16 v23, v40, v23
	v_pack_b32_f16 v39, v53, v46
	v_pk_mul_f16 v12, v12, s22 op_sel_hi:[1,0]
	ds_write2_b32 v10, v39, v23 offset0:3 offset1:4
	v_pk_fma_f16 v23, v11, s30, v12 op_sel:[0,0,1] op_sel_hi:[1,0,0] neg_lo:[1,0,0] neg_hi:[1,0,0]
	v_pk_mul_f16 v14, v14, s8 op_sel_hi:[1,0]
	v_pk_fma_f16 v11, v11, s30, v12 op_sel:[0,0,1] op_sel_hi:[1,0,0]
	v_pk_mul_f16 v16, v16, s17 op_sel_hi:[1,0]
	v_pk_add_f16 v11, v9, v11 op_sel:[1,0] op_sel_hi:[0,1]
	v_pk_fma_f16 v12, v13, s34, v14 op_sel:[0,0,1] op_sel_hi:[1,0,0]
	v_add_f16_sdwa v26, v9, v26 dst_sel:DWORD dst_unused:UNUSED_PAD src0_sel:WORD_1 src1_sel:DWORD
	v_add_f16_e32 v22, v25, v22
	v_alignbit_b32 v25, s0, v65, 16
	v_pk_mul_f16 v18, v18, s14 op_sel_hi:[1,0]
	v_pk_add_f16 v11, v12, v11
	v_pk_fma_f16 v12, v15, s16, v16 op_sel:[0,0,1] op_sel_hi:[1,0,0]
	v_add_f16_e32 v26, v28, v26
	v_fma_f16 v28, v27, s14, -v48
	v_pk_add_f16 v25, v9, v25
	v_alignbit_b32 v27, s0, v68, 16
	v_pk_mul_f16 v20, v20, s15 op_sel_hi:[1,0]
	v_pk_add_f16 v11, v12, v11
	v_pk_fma_f16 v12, v17, s23, v18 op_sel:[0,0,1] op_sel_hi:[1,0,0]
	v_pk_add_f16 v25, v27, v25
	v_alignbit_b32 v27, s0, v70, 16
	v_pk_add_f16 v11, v12, v11
	v_pk_fma_f16 v12, v19, s9, v20 op_sel:[0,0,1] op_sel_hi:[1,0,0]
	v_pk_add_f16 v25, v27, v25
	v_alignbit_b32 v27, s0, v9, 16
	v_pk_fma_f16 v39, v13, s34, v14 op_sel:[0,0,1] op_sel_hi:[1,0,0] neg_lo:[1,0,0] neg_hi:[1,0,0]
	v_pk_add_f16 v11, v12, v11
	v_alignbit_b32 v12, s0, v23, 16
	v_add_f16_e32 v26, v28, v26
	v_fma_f16 v28, v29, s8, -v49
	v_add_f16_sdwa v29, v9, v64 dst_sel:DWORD dst_unused:UNUSED_PAD src0_sel:WORD_1 src1_sel:DWORD
	v_pk_add_f16 v27, v27, v23
	v_pk_fma_f16 v40, v15, s16, v16 op_sel:[0,0,1] op_sel_hi:[1,0,0] neg_lo:[1,0,0] neg_hi:[1,0,0]
	v_pk_add_f16 v9, v9, v12
	v_alignbit_b32 v12, s0, v39, 16
	v_pk_add_f16 v27, v39, v27
	v_pk_fma_f16 v41, v17, s23, v18 op_sel:[0,0,1] op_sel_hi:[1,0,0] neg_lo:[1,0,0] neg_hi:[1,0,0]
	v_pk_add_f16 v9, v12, v9
	v_alignbit_b32 v12, s0, v40, 16
	;; [unrolled: 4-line block ×3, first 2 shown]
	v_pk_add_f16 v27, v41, v27
	v_pk_add_f16 v9, v12, v9
	v_alignbit_b32 v12, s0, v42, 16
	v_pk_add_f16 v27, v42, v27
	v_pk_add_f16 v9, v12, v9
	v_alignbit_b32 v12, v27, v11, 16
	v_pack_b32_f16 v9, v9, v11
	ds_write2_b32 v10, v9, v12 offset0:5 offset1:6
	v_pack_b32_f16 v9, v24, v21
	v_mul_f16_e32 v50, 0xba0c, v19
	ds_write2_b32 v10, v8, v9 offset1:7
	v_lshlrev_b32_e32 v8, 16, v25
	v_pk_mul_f16 v73, v19, s36
	v_pk_add_f16 v9, v51, v50 neg_lo:[0,1] neg_hi:[0,1]
	v_pk_add_f16 v8, v72, v8
	v_add_f16_e32 v29, v67, v29
	v_bfi_b32 v8, s6, v9, v8
	v_pack_b32_f16 v9, v28, v74
	v_bfi_b32 v11, s6, v26, v73
	v_add_f16_e32 v29, v69, v29
	v_pk_add_f16 v9, v9, v11
	v_add_f16_e32 v29, v71, v29
	v_pk_add_f16 v8, v8, v9
	v_add_f16_e32 v29, v76, v29
	v_alignbit_b32 v9, v22, v8, 16
	v_pack_b32_f16 v8, v37, v8
	ds_write2_b32 v10, v8, v9 offset0:8 offset1:9
	v_pack_b32_f16 v8, v38, v29
	ds_write_b32 v10, v8 offset:40
.LBB0_15:
	s_or_b64 exec, exec, s[4:5]
	s_movk_i32 s0, 0x75
	v_mul_lo_u16_sdwa v8, v7, s0 dst_sel:DWORD dst_unused:UNUSED_PAD src0_sel:BYTE_0 src1_sel:DWORD
	v_sub_u16_sdwa v9, v7, v8 dst_sel:DWORD dst_unused:UNUSED_PAD src0_sel:DWORD src1_sel:BYTE_1
	v_lshrrev_b16_e32 v9, 1, v9
	v_and_b32_e32 v9, 0x7f, v9
	v_add_u32_e32 v10, 0xc6, v3
	s_mov_b32 s1, 0xba2f
	v_mul_lo_u16_sdwa v12, v3, s0 dst_sel:DWORD dst_unused:UNUSED_PAD src0_sel:BYTE_0 src1_sel:DWORD
	v_add_u16_sdwa v8, v9, v8 dst_sel:DWORD dst_unused:UNUSED_PAD src0_sel:DWORD src1_sel:BYTE_1
	v_mul_u32_u24_sdwa v9, v10, s1 dst_sel:DWORD dst_unused:UNUSED_PAD src0_sel:WORD_0 src1_sel:DWORD
	v_sub_u16_sdwa v13, v3, v12 dst_sel:DWORD dst_unused:UNUSED_PAD src0_sel:DWORD src1_sel:BYTE_1
	v_lshrrev_b16_e32 v51, 3, v8
	v_lshrrev_b32_e32 v53, 19, v9
	v_lshrrev_b16_e32 v13, 1, v13
	v_mul_lo_u16_e32 v8, 11, v51
	v_mul_lo_u16_e32 v11, 11, v53
	v_and_b32_e32 v13, 0x7f, v13
	v_mov_b32_e32 v29, 3
	v_sub_u16_e32 v52, v7, v8
	v_sub_u16_e32 v54, v10, v11
	v_add_u16_sdwa v12, v13, v12 dst_sel:DWORD dst_unused:UNUSED_PAD src0_sel:DWORD src1_sel:BYTE_1
	v_lshlrev_b32_sdwa v8, v29, v52 dst_sel:DWORD dst_unused:UNUSED_PAD src0_sel:DWORD src1_sel:BYTE_0
	v_lshlrev_b32_e32 v11, 3, v54
	v_lshrrev_b16_e32 v55, 3, v12
	s_waitcnt lgkmcnt(0)
	s_barrier
	global_load_dwordx2 v[8:9], v8, s[12:13]
	v_add_u32_e32 v17, 0x18c, v3
	global_load_dwordx2 v[19:20], v11, s[12:13]
	v_mul_lo_u16_e32 v11, 11, v55
	v_sub_u16_e32 v56, v3, v11
	v_add_u32_e32 v11, 0x129, v3
	v_mul_u32_u24_sdwa v13, v11, s1 dst_sel:DWORD dst_unused:UNUSED_PAD src0_sel:WORD_0 src1_sel:DWORD
	v_lshrrev_b32_e32 v57, 19, v13
	v_mul_lo_u16_e32 v13, 11, v57
	v_sub_u16_e32 v58, v11, v13
	v_lshlrev_b32_sdwa v12, v29, v56 dst_sel:DWORD dst_unused:UNUSED_PAD src0_sel:DWORD src1_sel:BYTE_0
	v_lshlrev_b32_e32 v13, 3, v58
	global_load_dwordx2 v[21:22], v13, s[12:13]
	global_load_dwordx2 v[23:24], v12, s[12:13]
	v_mul_u32_u24_sdwa v12, v17, s1 dst_sel:DWORD dst_unused:UNUSED_PAD src0_sel:WORD_0 src1_sel:DWORD
	v_lshrrev_b32_e32 v59, 19, v12
	v_mul_lo_u16_e32 v12, 11, v59
	v_sub_u16_e32 v60, v17, v12
	v_lshlrev_b32_e32 v12, 3, v60
	v_add_u32_e32 v18, 0x1ef, v3
	global_load_dwordx2 v[25:26], v12, s[12:13]
	v_mul_u32_u24_sdwa v12, v18, s1 dst_sel:DWORD dst_unused:UNUSED_PAD src0_sel:WORD_0 src1_sel:DWORD
	v_lshrrev_b32_e32 v61, 19, v12
	v_mul_lo_u16_e32 v12, 11, v61
	v_sub_u16_e32 v62, v18, v12
	v_lshlrev_b32_e32 v12, 3, v62
	global_load_dwordx2 v[27:28], v12, s[12:13]
	v_add_u32_e32 v13, 0xa00, v0
	ds_read_b32 v63, v0
	ds_read2_b32 v[37:38], v35 offset0:65 offset1:164
	ds_read2_b32 v[39:40], v33 offset0:7 offset1:106
	;; [unrolled: 1-line block ×5, first 2 shown]
	s_movk_i32 s0, 0xffd8
	s_waitcnt lgkmcnt(3)
	v_lshrrev_b32_e32 v69, 16, v40
	v_mad_i32_i24 v14, v3, s0, v30
	v_lshl_add_u32 v12, v7, 2, 0
	s_waitcnt lgkmcnt(0)
	v_lshrrev_b32_e32 v75, 16, v45
	v_lshrrev_b32_e32 v74, 16, v46
	v_add_u32_e32 v16, 0x200, v14
	v_add_u32_e32 v15, 0x400, v14
	ds_read_b32 v64, v14 offset:2376
	ds_read_b32 v65, v12
	ds_read_b32 v66, v0 offset:6732
	ds_read2_b32 v[47:48], v16 offset0:70 offset1:169
	ds_read2_b32 v[49:50], v15 offset0:140 offset1:239
	v_lshrrev_b32_e32 v70, 16, v41
	v_lshrrev_b32_e32 v71, 16, v43
	;; [unrolled: 1-line block ×6, first 2 shown]
	s_movk_i32 s4, 0x3aee
	s_mov_b32 s5, 0xbaee
	s_waitcnt lgkmcnt(3)
	v_lshrrev_b32_e32 v76, 16, v65
	s_waitcnt lgkmcnt(1)
	v_lshrrev_b32_e32 v77, 16, v47
	v_lshrrev_b32_e32 v78, 16, v48
	s_waitcnt lgkmcnt(0)
	v_lshrrev_b32_e32 v79, 16, v49
	s_waitcnt vmcnt(0)
	s_barrier
	s_movk_i32 s0, 0xf9
	s_mov_b32 s1, 0xf83f
	v_mul_f16_sdwa v80, v8, v75 dst_sel:DWORD dst_unused:UNUSED_PAD src0_sel:WORD_1 src1_sel:DWORD
	v_mul_f16_sdwa v81, v8, v45 dst_sel:DWORD dst_unused:UNUSED_PAD src0_sel:WORD_1 src1_sel:DWORD
	v_fma_f16 v75, v8, v75, v81
	v_fma_f16 v8, v8, v45, -v80
	v_mul_f16_sdwa v45, v74, v19 dst_sel:DWORD dst_unused:UNUSED_PAD src0_sel:DWORD src1_sel:WORD_1
	v_fma_f16 v45, v46, v19, -v45
	v_mul_f16_sdwa v46, v46, v19 dst_sel:DWORD dst_unused:UNUSED_PAD src0_sel:DWORD src1_sel:WORD_1
	v_fma_f16 v19, v74, v19, v46
	v_mul_f16_sdwa v46, v69, v20 dst_sel:DWORD dst_unused:UNUSED_PAD src0_sel:DWORD src1_sel:WORD_1
	v_fma_f16 v46, v40, v20, -v46
	v_mul_f16_sdwa v40, v40, v20 dst_sel:DWORD dst_unused:UNUSED_PAD src0_sel:DWORD src1_sel:WORD_1
	v_fma_f16 v20, v69, v20, v40
	v_lshrrev_b32_e32 v40, 16, v64
	v_mul_f16_sdwa v69, v23, v40 dst_sel:DWORD dst_unused:UNUSED_PAD src0_sel:WORD_1 src1_sel:DWORD
	v_fma_f16 v69, v23, v64, -v69
	v_mul_f16_sdwa v64, v23, v64 dst_sel:DWORD dst_unused:UNUSED_PAD src0_sel:WORD_1 src1_sel:DWORD
	v_fma_f16 v23, v23, v40, v64
	v_lshrrev_b32_e32 v40, 16, v38
	v_mul_f16_sdwa v64, v24, v38 dst_sel:DWORD dst_unused:UNUSED_PAD src0_sel:WORD_1 src1_sel:DWORD
	v_fma_f16 v64, v24, v40, v64
	v_mul_f16_sdwa v40, v24, v40 dst_sel:DWORD dst_unused:UNUSED_PAD src0_sel:WORD_1 src1_sel:DWORD
	v_fma_f16 v24, v24, v38, -v40
	v_mul_f16_sdwa v38, v70, v21 dst_sel:DWORD dst_unused:UNUSED_PAD src0_sel:DWORD src1_sel:WORD_1
	v_mul_f16_sdwa v40, v41, v21 dst_sel:DWORD dst_unused:UNUSED_PAD src0_sel:DWORD src1_sel:WORD_1
	v_fma_f16 v38, v41, v21, -v38
	v_fma_f16 v21, v70, v21, v40
	v_mul_f16_sdwa v40, v43, v22 dst_sel:DWORD dst_unused:UNUSED_PAD src0_sel:DWORD src1_sel:WORD_1
	v_mul_f16_sdwa v41, v71, v22 dst_sel:DWORD dst_unused:UNUSED_PAD src0_sel:DWORD src1_sel:WORD_1
	;; [unrolled: 1-line block ×3, first 2 shown]
	v_fma_f16 v40, v71, v22, v40
	v_fma_f16 v22, v43, v22, -v41
	v_mul_f16_sdwa v41, v72, v25 dst_sel:DWORD dst_unused:UNUSED_PAD src0_sel:DWORD src1_sel:WORD_1
	v_fma_f16 v81, v68, v9, v81
	v_mul_f16_sdwa v68, v68, v9 dst_sel:DWORD dst_unused:UNUSED_PAD src0_sel:DWORD src1_sel:WORD_1
	v_fma_f16 v41, v42, v25, -v41
	v_mul_f16_sdwa v42, v42, v25 dst_sel:DWORD dst_unused:UNUSED_PAD src0_sel:DWORD src1_sel:WORD_1
	v_fma_f16 v9, v39, v9, -v68
	v_lshrrev_b32_e32 v68, 16, v37
	v_fma_f16 v25, v72, v25, v42
	v_mul_f16_sdwa v42, v73, v26 dst_sel:DWORD dst_unused:UNUSED_PAD src0_sel:DWORD src1_sel:WORD_1
	v_mul_f16_sdwa v43, v44, v26 dst_sel:DWORD dst_unused:UNUSED_PAD src0_sel:DWORD src1_sel:WORD_1
	v_fma_f16 v42, v44, v26, -v42
	v_fma_f16 v26, v73, v26, v43
	v_mul_f16_sdwa v43, v68, v27 dst_sel:DWORD dst_unused:UNUSED_PAD src0_sel:DWORD src1_sel:WORD_1
	v_lshrrev_b32_e32 v74, 16, v66
	v_fma_f16 v43, v37, v27, -v43
	v_mul_f16_sdwa v37, v37, v27 dst_sel:DWORD dst_unused:UNUSED_PAD src0_sel:DWORD src1_sel:WORD_1
	v_fma_f16 v27, v68, v27, v37
	v_mul_f16_sdwa v37, v74, v28 dst_sel:DWORD dst_unused:UNUSED_PAD src0_sel:DWORD src1_sel:WORD_1
	v_fma_f16 v37, v66, v28, -v37
	v_mul_f16_sdwa v44, v66, v28 dst_sel:DWORD dst_unused:UNUSED_PAD src0_sel:DWORD src1_sel:WORD_1
	v_add_f16_e32 v66, v69, v24
	v_fma_f16 v28, v74, v28, v44
	v_add_f16_e32 v44, v63, v69
	v_fma_f16 v63, v66, -0.5, v63
	v_sub_f16_e32 v66, v23, v64
	v_fma_f16 v68, v66, s4, v63
	v_fma_f16 v63, v66, s5, v63
	v_add_f16_e32 v66, v67, v23
	v_add_f16_e32 v23, v23, v64
	;; [unrolled: 1-line block ×3, first 2 shown]
	v_fma_f16 v23, v23, -0.5, v67
	v_sub_f16_e32 v24, v69, v24
	v_add_f16_e32 v70, v75, v81
	v_add_f16_e32 v66, v66, v64
	v_fma_f16 v64, v24, s5, v23
	v_fma_f16 v23, v24, s4, v23
	v_add_f16_e32 v24, v65, v8
	v_add_f16_e32 v67, v8, v9
	v_fma_f16 v70, v70, -0.5, v76
	v_sub_f16_e32 v8, v8, v9
	v_add_f16_e32 v71, v45, v46
	v_add_f16_e32 v24, v24, v9
	v_fma_f16 v9, v8, s5, v70
	v_fma_f16 v8, v8, s4, v70
	v_add_f16_e32 v70, v47, v45
	v_fma_f16 v47, v71, -0.5, v47
	v_sub_f16_e32 v71, v19, v20
	v_fma_f16 v72, v71, s4, v47
	v_fma_f16 v47, v71, s5, v47
	v_add_f16_e32 v71, v77, v19
	v_add_f16_e32 v19, v19, v20
	v_add_f16_e32 v70, v70, v46
	v_add_f16_e32 v71, v71, v20
	v_fma_f16 v19, v19, -0.5, v77
	v_sub_f16_e32 v20, v45, v46
	v_add_f16_e32 v46, v38, v22
	v_fma_f16 v45, v20, s5, v19
	v_fma_f16 v19, v20, s4, v19
	v_add_f16_e32 v20, v48, v38
	v_fma_f16 v46, v46, -0.5, v48
	v_sub_f16_e32 v48, v21, v40
	v_fma_f16 v73, v48, s4, v46
	v_fma_f16 v46, v48, s5, v46
	v_add_f16_e32 v48, v78, v21
	v_add_f16_e32 v21, v21, v40
	v_add_f16_e32 v20, v20, v22
	v_add_f16_e32 v48, v48, v40
	v_fma_f16 v21, v21, -0.5, v78
	v_sub_f16_e32 v22, v38, v22
	;; [unrolled: 14-line block ×3, first 2 shown]
	v_add_f16_e32 v42, v43, v37
	v_lshrrev_b32_e32 v39, 16, v50
	v_fma_f16 v65, v67, -0.5, v65
	v_sub_f16_e32 v67, v75, v81
	v_fma_f16 v41, v26, s5, v25
	v_fma_f16 v25, v26, s4, v25
	v_add_f16_e32 v26, v50, v43
	v_fma_f16 v42, v42, -0.5, v50
	v_sub_f16_e32 v50, v27, v28
	v_fma_f16 v69, v67, s4, v65
	v_fma_f16 v65, v67, s5, v65
	v_add_f16_e32 v67, v76, v75
	v_fma_f16 v75, v50, s4, v42
	v_fma_f16 v42, v50, s5, v42
	v_add_f16_e32 v50, v39, v27
	v_add_f16_e32 v27, v27, v28
	;; [unrolled: 1-line block ×3, first 2 shown]
	v_fma_f16 v27, v27, -0.5, v39
	v_sub_f16_e32 v28, v43, v37
	v_add_f16_e32 v26, v26, v37
	v_fma_f16 v37, v28, s5, v27
	v_fma_f16 v27, v28, s4, v27
	v_mul_u32_u24_e32 v28, 0x84, v55
	v_mov_b32_e32 v55, 2
	v_lshlrev_b32_sdwa v39, v55, v56 dst_sel:DWORD dst_unused:UNUSED_PAD src0_sel:DWORD src1_sel:BYTE_0
	v_add3_u32 v28, 0, v28, v39
	v_pack_b32_f16 v39, v44, v66
	v_pack_b32_f16 v43, v68, v64
	v_pack_b32_f16 v23, v63, v23
	v_add_f16_e32 v67, v67, v81
	ds_write2_b32 v28, v39, v43 offset1:11
	ds_write_b32 v28, v23 offset:88
	v_mul_u32_u24_e32 v23, 0x84, v51
	v_lshlrev_b32_sdwa v28, v55, v52 dst_sel:DWORD dst_unused:UNUSED_PAD src0_sel:DWORD src1_sel:BYTE_0
	v_add3_u32 v23, 0, v23, v28
	v_pack_b32_f16 v24, v24, v67
	v_pack_b32_f16 v9, v69, v9
	v_pack_b32_f16 v8, v65, v8
	ds_write2_b32 v23, v24, v9 offset1:11
	ds_write_b32 v23, v8 offset:88
	v_mul_u32_u24_e32 v8, 0x84, v53
	v_lshlrev_b32_e32 v9, 2, v54
	v_add3_u32 v8, 0, v8, v9
	v_pack_b32_f16 v9, v70, v71
	v_pack_b32_f16 v23, v72, v45
	ds_write2_b32 v8, v9, v23 offset1:11
	v_pack_b32_f16 v9, v47, v19
	ds_write_b32 v8, v9 offset:88
	v_mul_u32_u24_e32 v8, 0x84, v57
	v_lshlrev_b32_e32 v9, 2, v58
	v_add3_u32 v8, 0, v8, v9
	v_pack_b32_f16 v9, v20, v48
	v_pack_b32_f16 v19, v73, v38
	ds_write2_b32 v8, v9, v19 offset1:11
	v_pack_b32_f16 v9, v46, v21
	;; [unrolled: 8-line block ×4, first 2 shown]
	ds_write_b32 v8, v9 offset:88
	v_mul_lo_u16_sdwa v8, v7, s0 dst_sel:DWORD dst_unused:UNUSED_PAD src0_sel:BYTE_0 src1_sel:DWORD
	v_lshrrev_b16_e32 v51, 13, v8
	v_mul_lo_u16_e32 v8, 33, v51
	v_sub_u16_e32 v52, v7, v8
	v_lshlrev_b32_sdwa v8, v29, v52 dst_sel:DWORD dst_unused:UNUSED_PAD src0_sel:DWORD src1_sel:BYTE_0
	v_mul_u32_u24_sdwa v19, v10, s1 dst_sel:DWORD dst_unused:UNUSED_PAD src0_sel:WORD_0 src1_sel:DWORD
	s_waitcnt lgkmcnt(0)
	s_barrier
	global_load_dwordx2 v[8:9], v8, s[12:13] offset:88
	v_lshrrev_b32_e32 v53, 21, v19
	v_mul_lo_u16_e32 v19, 33, v53
	v_mul_lo_u16_sdwa v21, v3, s0 dst_sel:DWORD dst_unused:UNUSED_PAD src0_sel:BYTE_0 src1_sel:DWORD
	v_sub_u16_e32 v54, v10, v19
	v_lshrrev_b16_e32 v56, 13, v21
	v_lshlrev_b32_e32 v19, 3, v54
	global_load_dwordx2 v[19:20], v19, s[12:13] offset:88
	v_mul_lo_u16_e32 v21, 33, v56
	v_sub_u16_e32 v57, v3, v21
	v_mul_u32_u24_sdwa v21, v11, s1 dst_sel:DWORD dst_unused:UNUSED_PAD src0_sel:WORD_0 src1_sel:DWORD
	v_lshlrev_b32_sdwa v25, v29, v57 dst_sel:DWORD dst_unused:UNUSED_PAD src0_sel:DWORD src1_sel:BYTE_0
	v_lshrrev_b32_e32 v29, 21, v21
	v_mul_lo_u16_e32 v21, 33, v29
	v_sub_u16_e32 v58, v11, v21
	v_lshlrev_b32_e32 v26, 3, v58
	global_load_dwordx2 v[21:22], v26, s[12:13] offset:88
	global_load_dwordx2 v[23:24], v25, s[12:13] offset:88
	v_mul_u32_u24_sdwa v25, v17, s1 dst_sel:DWORD dst_unused:UNUSED_PAD src0_sel:WORD_0 src1_sel:DWORD
	v_lshrrev_b32_e32 v59, 21, v25
	v_mul_lo_u16_e32 v25, 33, v59
	v_sub_u16_e32 v60, v17, v25
	v_mul_u32_u24_sdwa v27, v18, s1 dst_sel:DWORD dst_unused:UNUSED_PAD src0_sel:WORD_0 src1_sel:DWORD
	v_lshlrev_b32_e32 v25, 3, v60
	v_lshrrev_b32_e32 v61, 21, v27
	global_load_dwordx2 v[25:26], v25, s[12:13] offset:88
	v_mul_lo_u16_e32 v27, 33, v61
	v_sub_u16_e32 v62, v18, v27
	v_lshlrev_b32_e32 v27, 3, v62
	global_load_dwordx2 v[27:28], v27, s[12:13] offset:88
	ds_read_b32 v63, v0
	ds_read_b32 v64, v14 offset:2376
	ds_read_b32 v65, v12
	ds_read_b32 v66, v0 offset:6732
	ds_read2_b32 v[37:38], v16 offset0:70 offset1:169
	ds_read2_b32 v[39:40], v13 offset0:53 offset1:152
	;; [unrolled: 1-line block ×7, first 2 shown]
	s_waitcnt lgkmcnt(10)
	v_lshrrev_b32_e32 v67, 16, v63
	s_waitcnt lgkmcnt(5)
	v_lshrrev_b32_e32 v78, 16, v39
	v_lshrrev_b32_e32 v70, 16, v40
	s_waitcnt lgkmcnt(3)
	v_lshrrev_b32_e32 v71, 16, v44
	s_waitcnt lgkmcnt(2)
	;; [unrolled: 2-line block ×3, first 2 shown]
	v_lshrrev_b32_e32 v74, 16, v47
	v_lshrrev_b32_e32 v76, 16, v46
	;; [unrolled: 1-line block ×7, first 2 shown]
	s_waitcnt lgkmcnt(0)
	v_lshrrev_b32_e32 v75, 16, v49
	s_waitcnt vmcnt(0)
	s_barrier
	v_mul_f16_sdwa v79, v8, v78 dst_sel:DWORD dst_unused:UNUSED_PAD src0_sel:WORD_1 src1_sel:DWORD
	v_fma_f16 v79, v8, v39, -v79
	v_mul_f16_sdwa v39, v8, v39 dst_sel:DWORD dst_unused:UNUSED_PAD src0_sel:WORD_1 src1_sel:DWORD
	v_fma_f16 v8, v8, v78, v39
	v_lshrrev_b32_e32 v39, 16, v43
	v_mul_f16_sdwa v78, v9, v43 dst_sel:DWORD dst_unused:UNUSED_PAD src0_sel:WORD_1 src1_sel:DWORD
	v_fma_f16 v78, v9, v39, v78
	v_mul_f16_sdwa v39, v9, v39 dst_sel:DWORD dst_unused:UNUSED_PAD src0_sel:WORD_1 src1_sel:DWORD
	v_fma_f16 v9, v9, v43, -v39
	v_mul_f16_sdwa v43, v70, v19 dst_sel:DWORD dst_unused:UNUSED_PAD src0_sel:DWORD src1_sel:WORD_1
	v_fma_f16 v43, v40, v19, -v43
	v_mul_f16_sdwa v40, v40, v19 dst_sel:DWORD dst_unused:UNUSED_PAD src0_sel:DWORD src1_sel:WORD_1
	v_fma_f16 v19, v70, v19, v40
	v_mul_f16_sdwa v40, v71, v20 dst_sel:DWORD dst_unused:UNUSED_PAD src0_sel:DWORD src1_sel:WORD_1
	v_fma_f16 v40, v44, v20, -v40
	v_mul_f16_sdwa v44, v44, v20 dst_sel:DWORD dst_unused:UNUSED_PAD src0_sel:DWORD src1_sel:WORD_1
	v_fma_f16 v20, v71, v20, v44
	v_lshrrev_b32_e32 v44, 16, v64
	v_mul_f16_sdwa v71, v23, v44 dst_sel:DWORD dst_unused:UNUSED_PAD src0_sel:WORD_1 src1_sel:DWORD
	v_fma_f16 v71, v23, v64, -v71
	v_mul_f16_sdwa v64, v23, v64 dst_sel:DWORD dst_unused:UNUSED_PAD src0_sel:WORD_1 src1_sel:DWORD
	v_fma_f16 v23, v23, v44, v64
	v_lshrrev_b32_e32 v44, 16, v42
	v_mul_f16_sdwa v64, v24, v42 dst_sel:DWORD dst_unused:UNUSED_PAD src0_sel:WORD_1 src1_sel:DWORD
	v_fma_f16 v64, v24, v44, v64
	v_mul_f16_sdwa v44, v24, v44 dst_sel:DWORD dst_unused:UNUSED_PAD src0_sel:WORD_1 src1_sel:DWORD
	v_fma_f16 v24, v24, v42, -v44
	v_mul_f16_sdwa v42, v73, v21 dst_sel:DWORD dst_unused:UNUSED_PAD src0_sel:DWORD src1_sel:WORD_1
	v_mul_f16_sdwa v44, v45, v21 dst_sel:DWORD dst_unused:UNUSED_PAD src0_sel:DWORD src1_sel:WORD_1
	v_fma_f16 v42, v45, v21, -v42
	v_fma_f16 v21, v73, v21, v44
	v_mul_f16_sdwa v44, v47, v22 dst_sel:DWORD dst_unused:UNUSED_PAD src0_sel:DWORD src1_sel:WORD_1
	v_mul_f16_sdwa v45, v74, v22 dst_sel:DWORD dst_unused:UNUSED_PAD src0_sel:DWORD src1_sel:WORD_1
	v_fma_f16 v44, v74, v22, v44
	v_fma_f16 v22, v47, v22, -v45
	v_mul_f16_sdwa v45, v76, v25 dst_sel:DWORD dst_unused:UNUSED_PAD src0_sel:DWORD src1_sel:WORD_1
	v_fma_f16 v45, v46, v25, -v45
	v_mul_f16_sdwa v46, v46, v25 dst_sel:DWORD dst_unused:UNUSED_PAD src0_sel:DWORD src1_sel:WORD_1
	v_fma_f16 v25, v76, v25, v46
	v_mul_f16_sdwa v46, v77, v26 dst_sel:DWORD dst_unused:UNUSED_PAD src0_sel:DWORD src1_sel:WORD_1
	v_mul_f16_sdwa v47, v48, v26 dst_sel:DWORD dst_unused:UNUSED_PAD src0_sel:DWORD src1_sel:WORD_1
	v_fma_f16 v46, v48, v26, -v46
	v_fma_f16 v26, v77, v26, v47
	v_mul_f16_sdwa v47, v80, v27 dst_sel:DWORD dst_unused:UNUSED_PAD src0_sel:DWORD src1_sel:WORD_1
	v_lshrrev_b32_e32 v70, 16, v66
	v_fma_f16 v47, v41, v27, -v47
	v_mul_f16_sdwa v41, v41, v27 dst_sel:DWORD dst_unused:UNUSED_PAD src0_sel:DWORD src1_sel:WORD_1
	v_fma_f16 v27, v80, v27, v41
	v_mul_f16_sdwa v41, v70, v28 dst_sel:DWORD dst_unused:UNUSED_PAD src0_sel:DWORD src1_sel:WORD_1
	v_fma_f16 v41, v66, v28, -v41
	v_mul_f16_sdwa v48, v66, v28 dst_sel:DWORD dst_unused:UNUSED_PAD src0_sel:DWORD src1_sel:WORD_1
	v_add_f16_e32 v66, v71, v24
	v_fma_f16 v28, v70, v28, v48
	v_add_f16_e32 v48, v63, v71
	v_fma_f16 v63, v66, -0.5, v63
	v_sub_f16_e32 v66, v23, v64
	v_fma_f16 v70, v66, s4, v63
	v_fma_f16 v63, v66, s5, v63
	v_add_f16_e32 v66, v67, v23
	v_add_f16_e32 v23, v23, v64
	;; [unrolled: 1-line block ×3, first 2 shown]
	v_fma_f16 v23, v23, -0.5, v67
	v_sub_f16_e32 v24, v71, v24
	v_add_f16_e32 v67, v79, v9
	v_add_f16_e32 v66, v66, v64
	v_fma_f16 v64, v24, s5, v23
	v_fma_f16 v23, v24, s4, v23
	v_add_f16_e32 v24, v65, v79
	v_fma_f16 v65, v67, -0.5, v65
	v_sub_f16_e32 v67, v8, v78
	v_fma_f16 v71, v67, s4, v65
	v_fma_f16 v65, v67, s5, v65
	v_add_f16_e32 v67, v68, v8
	v_add_f16_e32 v8, v8, v78
	;; [unrolled: 1-line block ×3, first 2 shown]
	v_fma_f16 v8, v8, -0.5, v68
	v_sub_f16_e32 v9, v79, v9
	v_add_f16_e32 v73, v43, v40
	v_fma_f16 v68, v9, s5, v8
	v_fma_f16 v8, v9, s4, v8
	v_add_f16_e32 v9, v37, v43
	v_fma_f16 v37, v73, -0.5, v37
	v_sub_f16_e32 v73, v19, v20
	v_fma_f16 v74, v73, s4, v37
	v_fma_f16 v37, v73, s5, v37
	v_add_f16_e32 v73, v69, v19
	v_add_f16_e32 v19, v19, v20
	v_add_f16_e32 v73, v73, v20
	v_fma_f16 v19, v19, -0.5, v69
	v_sub_f16_e32 v20, v43, v40
	v_add_f16_e32 v43, v42, v22
	v_add_f16_e32 v9, v9, v40
	v_fma_f16 v40, v20, s5, v19
	v_fma_f16 v19, v20, s4, v19
	v_add_f16_e32 v20, v38, v42
	v_fma_f16 v38, v43, -0.5, v38
	v_sub_f16_e32 v43, v21, v44
	v_fma_f16 v69, v43, s4, v38
	v_fma_f16 v38, v43, s5, v38
	v_add_f16_e32 v43, v72, v21
	v_add_f16_e32 v21, v21, v44
	;; [unrolled: 1-line block ×4, first 2 shown]
	v_fma_f16 v21, v21, -0.5, v72
	v_sub_f16_e32 v22, v42, v22
	v_add_f16_e32 v44, v45, v46
	v_fma_f16 v42, v22, s5, v21
	v_fma_f16 v21, v22, s4, v21
	v_add_f16_e32 v22, v49, v45
	v_fma_f16 v44, v44, -0.5, v49
	v_sub_f16_e32 v49, v25, v26
	v_fma_f16 v72, v49, s4, v44
	v_fma_f16 v44, v49, s5, v44
	v_add_f16_e32 v49, v75, v25
	v_add_f16_e32 v25, v25, v26
	;; [unrolled: 1-line block ×4, first 2 shown]
	v_fma_f16 v25, v25, -0.5, v75
	v_sub_f16_e32 v26, v45, v46
	v_add_f16_e32 v46, v47, v41
	v_lshrrev_b32_e32 v39, 16, v50
	v_fma_f16 v45, v26, s5, v25
	v_fma_f16 v25, v26, s4, v25
	v_add_f16_e32 v26, v50, v47
	v_fma_f16 v46, v46, -0.5, v50
	v_sub_f16_e32 v50, v27, v28
	v_fma_f16 v75, v50, s4, v46
	v_fma_f16 v46, v50, s5, v46
	v_add_f16_e32 v50, v39, v27
	v_add_f16_e32 v27, v27, v28
	;; [unrolled: 1-line block ×3, first 2 shown]
	v_fma_f16 v27, v27, -0.5, v39
	v_sub_f16_e32 v28, v47, v41
	v_add_f16_e32 v26, v26, v41
	v_fma_f16 v39, v28, s5, v27
	v_fma_f16 v27, v28, s4, v27
	v_mul_u32_u24_e32 v28, 0x18c, v56
	v_lshlrev_b32_sdwa v41, v55, v57 dst_sel:DWORD dst_unused:UNUSED_PAD src0_sel:DWORD src1_sel:BYTE_0
	v_add3_u32 v28, 0, v28, v41
	v_pack_b32_f16 v41, v48, v66
	v_pack_b32_f16 v47, v70, v64
	;; [unrolled: 1-line block ×3, first 2 shown]
	v_add_f16_e32 v67, v67, v78
	ds_write2_b32 v28, v41, v47 offset1:33
	ds_write_b32 v28, v23 offset:264
	v_mul_u32_u24_e32 v23, 0x18c, v51
	v_lshlrev_b32_sdwa v28, v55, v52 dst_sel:DWORD dst_unused:UNUSED_PAD src0_sel:DWORD src1_sel:BYTE_0
	v_add3_u32 v23, 0, v23, v28
	v_pack_b32_f16 v24, v24, v67
	v_pack_b32_f16 v28, v71, v68
	;; [unrolled: 1-line block ×3, first 2 shown]
	ds_write2_b32 v23, v24, v28 offset1:33
	ds_write_b32 v23, v8 offset:264
	v_mul_u32_u24_e32 v8, 0x18c, v53
	v_lshlrev_b32_e32 v23, 2, v54
	v_add3_u32 v8, 0, v8, v23
	v_pack_b32_f16 v9, v9, v73
	v_pack_b32_f16 v23, v74, v40
	ds_write2_b32 v8, v9, v23 offset1:33
	v_pack_b32_f16 v9, v37, v19
	ds_write_b32 v8, v9 offset:264
	v_mul_u32_u24_e32 v8, 0x18c, v29
	v_lshlrev_b32_e32 v9, 2, v58
	v_add3_u32 v8, 0, v8, v9
	v_pack_b32_f16 v9, v20, v43
	v_pack_b32_f16 v19, v69, v42
	ds_write2_b32 v8, v9, v19 offset1:33
	v_pack_b32_f16 v9, v38, v21
	ds_write_b32 v8, v9 offset:264
	v_mul_u32_u24_e32 v8, 0x18c, v59
	v_lshlrev_b32_e32 v9, 2, v60
	v_add3_u32 v8, 0, v8, v9
	v_pack_b32_f16 v9, v22, v49
	v_pack_b32_f16 v19, v72, v45
	ds_write2_b32 v8, v9, v19 offset1:33
	v_pack_b32_f16 v9, v44, v25
	ds_write_b32 v8, v9 offset:264
	v_mul_u32_u24_e32 v8, 0x18c, v61
	v_lshlrev_b32_e32 v9, 2, v62
	v_add3_u32 v8, 0, v8, v9
	v_pack_b32_f16 v9, v26, v50
	v_pack_b32_f16 v19, v75, v39
	ds_write2_b32 v8, v9, v19 offset1:33
	v_pack_b32_f16 v9, v46, v27
	ds_write_b32 v8, v9 offset:264
	v_lshlrev_b32_e32 v8, 1, v3
	v_mov_b32_e32 v9, 0
	v_lshlrev_b64 v[20:21], 2, v[8:9]
	v_mov_b32_e32 v19, s13
	v_add_co_u32_e64 v20, s[0:1], s12, v20
	v_addc_co_u32_e64 v21, s[0:1], v19, v21, s[0:1]
	s_waitcnt lgkmcnt(0)
	s_barrier
	global_load_dwordx2 v[22:23], v[20:21], off offset:352
	s_mov_b32 s0, 0xa57f
	v_mul_u32_u24_sdwa v8, v10, s0 dst_sel:DWORD dst_unused:UNUSED_PAD src0_sel:WORD_0 src1_sel:DWORD
	v_lshrrev_b32_e32 v8, 22, v8
	v_mul_lo_u16_e32 v8, 0x63, v8
	v_sub_u16_e32 v8, v10, v8
	v_mul_u32_u24_sdwa v26, v11, s0 dst_sel:DWORD dst_unused:UNUSED_PAD src0_sel:WORD_0 src1_sel:DWORD
	v_mul_u32_u24_sdwa v28, v17, s0 dst_sel:DWORD dst_unused:UNUSED_PAD src0_sel:WORD_0 src1_sel:DWORD
	v_lshlrev_b32_e32 v24, 3, v8
	global_load_dwordx2 v[24:25], v24, s[12:13] offset:352
	v_lshrrev_b32_e32 v26, 22, v26
	v_lshrrev_b32_e32 v28, 22, v28
	v_mul_lo_u16_e32 v26, 0x63, v26
	v_mul_lo_u16_e32 v28, 0x63, v28
	v_sub_u16_e32 v11, v11, v26
	v_sub_u16_e32 v51, v17, v28
	v_lshlrev_b32_e32 v26, 3, v11
	v_lshlrev_b32_e32 v17, 3, v51
	global_load_dwordx2 v[28:29], v17, s[12:13] offset:352
	v_mul_u32_u24_sdwa v17, v18, s0 dst_sel:DWORD dst_unused:UNUSED_PAD src0_sel:WORD_0 src1_sel:DWORD
	global_load_dwordx2 v[26:27], v26, s[12:13] offset:352
	v_lshrrev_b32_e32 v17, 22, v17
	v_mul_lo_u16_e32 v17, 0x63, v17
	v_sub_u16_e32 v52, v18, v17
	v_lshlrev_b32_e32 v17, 3, v52
	global_load_dwordx2 v[17:18], v17, s[12:13] offset:352
	ds_read_b32 v53, v0
	ds_read_b32 v54, v14 offset:2376
	ds_read_b32 v55, v12
	ds_read_b32 v56, v0 offset:6732
	ds_read2_b32 v[37:38], v16 offset0:70 offset1:169
	ds_read2_b32 v[39:40], v13 offset0:53 offset1:152
	;; [unrolled: 1-line block ×4, first 2 shown]
	s_waitcnt lgkmcnt(6)
	v_lshrrev_b32_e32 v71, 16, v54
	ds_read2_b32 v[45:46], v34 offset0:123 offset1:222
	ds_read2_b32 v[47:48], v32 offset0:77 offset1:176
	;; [unrolled: 1-line block ×3, first 2 shown]
	s_waitcnt lgkmcnt(5)
	v_lshrrev_b32_e32 v60, 16, v40
	s_waitcnt lgkmcnt(4)
	v_lshrrev_b32_e32 v69, 16, v41
	;; [unrolled: 2-line block ×5, first 2 shown]
	v_lshrrev_b32_e32 v66, 16, v46
	v_lshrrev_b32_e32 v67, 16, v48
	;; [unrolled: 1-line block ×7, first 2 shown]
	s_waitcnt lgkmcnt(0)
	v_lshrrev_b32_e32 v65, 16, v49
	v_lshrrev_b32_e32 v68, 16, v50
	s_waitcnt vmcnt(0)
	s_barrier
	v_mul_f16_sdwa v72, v22, v71 dst_sel:DWORD dst_unused:UNUSED_PAD src0_sel:WORD_1 src1_sel:DWORD
	v_fma_f16 v72, v22, v54, -v72
	v_mul_f16_sdwa v54, v22, v54 dst_sel:DWORD dst_unused:UNUSED_PAD src0_sel:WORD_1 src1_sel:DWORD
	v_fma_f16 v54, v22, v71, v54
	v_lshrrev_b32_e32 v71, 16, v42
	v_mul_f16_sdwa v73, v23, v71 dst_sel:DWORD dst_unused:UNUSED_PAD src0_sel:WORD_1 src1_sel:DWORD
	v_fma_f16 v73, v23, v42, -v73
	v_mul_f16_sdwa v42, v23, v42 dst_sel:DWORD dst_unused:UNUSED_PAD src0_sel:WORD_1 src1_sel:DWORD
	v_fma_f16 v42, v23, v71, v42
	v_lshrrev_b32_e32 v71, 16, v39
	;; [unrolled: 5-line block ×3, first 2 shown]
	v_mul_f16_sdwa v71, v23, v39 dst_sel:DWORD dst_unused:UNUSED_PAD src0_sel:WORD_1 src1_sel:DWORD
	v_fma_f16 v71, v23, v43, -v71
	v_mul_f16_sdwa v43, v23, v43 dst_sel:DWORD dst_unused:UNUSED_PAD src0_sel:WORD_1 src1_sel:DWORD
	v_fma_f16 v23, v23, v39, v43
	v_mul_f16_sdwa v39, v60, v24 dst_sel:DWORD dst_unused:UNUSED_PAD src0_sel:DWORD src1_sel:WORD_1
	v_fma_f16 v39, v40, v24, -v39
	v_mul_f16_sdwa v40, v40, v24 dst_sel:DWORD dst_unused:UNUSED_PAD src0_sel:DWORD src1_sel:WORD_1
	v_fma_f16 v24, v60, v24, v40
	v_mul_f16_sdwa v40, v61, v25 dst_sel:DWORD dst_unused:UNUSED_PAD src0_sel:DWORD src1_sel:WORD_1
	v_mul_f16_sdwa v43, v44, v25 dst_sel:DWORD dst_unused:UNUSED_PAD src0_sel:DWORD src1_sel:WORD_1
	v_fma_f16 v40, v44, v25, -v40
	v_fma_f16 v25, v61, v25, v43
	v_mul_f16_sdwa v43, v63, v26 dst_sel:DWORD dst_unused:UNUSED_PAD src0_sel:DWORD src1_sel:WORD_1
	v_mul_f16_sdwa v44, v45, v26 dst_sel:DWORD dst_unused:UNUSED_PAD src0_sel:DWORD src1_sel:WORD_1
	v_fma_f16 v43, v45, v26, -v43
	;; [unrolled: 4-line block ×3, first 2 shown]
	v_fma_f16 v27, v64, v27, v45
	v_mul_f16_sdwa v45, v66, v28 dst_sel:DWORD dst_unused:UNUSED_PAD src0_sel:DWORD src1_sel:WORD_1
	v_fma_f16 v45, v46, v28, -v45
	v_mul_f16_sdwa v46, v46, v28 dst_sel:DWORD dst_unused:UNUSED_PAD src0_sel:DWORD src1_sel:WORD_1
	v_fma_f16 v28, v66, v28, v46
	v_mul_f16_sdwa v46, v67, v29 dst_sel:DWORD dst_unused:UNUSED_PAD src0_sel:DWORD src1_sel:WORD_1
	v_mul_f16_sdwa v47, v48, v29 dst_sel:DWORD dst_unused:UNUSED_PAD src0_sel:DWORD src1_sel:WORD_1
	v_fma_f16 v46, v48, v29, -v46
	v_fma_f16 v29, v67, v29, v47
	v_mul_f16_sdwa v47, v69, v17 dst_sel:DWORD dst_unused:UNUSED_PAD src0_sel:DWORD src1_sel:WORD_1
	v_fma_f16 v47, v41, v17, -v47
	v_mul_f16_sdwa v41, v41, v17 dst_sel:DWORD dst_unused:UNUSED_PAD src0_sel:DWORD src1_sel:WORD_1
	v_fma_f16 v17, v69, v17, v41
	v_mul_f16_sdwa v41, v70, v18 dst_sel:DWORD dst_unused:UNUSED_PAD src0_sel:DWORD src1_sel:WORD_1
	v_fma_f16 v41, v56, v18, -v41
	v_mul_f16_sdwa v48, v56, v18 dst_sel:DWORD dst_unused:UNUSED_PAD src0_sel:DWORD src1_sel:WORD_1
	v_add_f16_e32 v56, v72, v73
	v_fma_f16 v18, v70, v18, v48
	v_add_f16_e32 v48, v53, v72
	v_fma_f16 v53, v56, -0.5, v53
	v_sub_f16_e32 v56, v54, v42
	v_fma_f16 v60, v56, s4, v53
	v_fma_f16 v53, v56, s5, v53
	v_add_f16_e32 v56, v57, v54
	v_add_f16_e32 v56, v56, v42
	;; [unrolled: 1-line block ×3, first 2 shown]
	v_fma_f16 v42, v42, -0.5, v57
	v_sub_f16_e32 v54, v72, v73
	v_add_f16_e32 v61, v74, v71
	v_fma_f16 v57, v54, s5, v42
	v_fma_f16 v42, v54, s4, v42
	v_add_f16_e32 v54, v55, v74
	v_fma_f16 v55, v61, -0.5, v55
	v_sub_f16_e32 v61, v22, v23
	v_fma_f16 v63, v61, s4, v55
	v_fma_f16 v55, v61, s5, v55
	v_add_f16_e32 v61, v58, v22
	v_add_f16_e32 v22, v22, v23
	v_add_f16_e32 v61, v61, v23
	v_fma_f16 v22, v22, -0.5, v58
	v_sub_f16_e32 v23, v74, v71
	v_add_f16_e32 v64, v39, v40
	v_fma_f16 v58, v23, s5, v22
	v_fma_f16 v22, v23, s4, v22
	v_add_f16_e32 v23, v37, v39
	v_fma_f16 v37, v64, -0.5, v37
	v_sub_f16_e32 v64, v24, v25
	v_fma_f16 v66, v64, s4, v37
	v_fma_f16 v37, v64, s5, v37
	v_add_f16_e32 v64, v59, v24
	v_add_f16_e32 v24, v24, v25
	v_add_f16_e32 v23, v23, v40
	v_add_f16_e32 v64, v64, v25
	v_fma_f16 v24, v24, -0.5, v59
	v_sub_f16_e32 v25, v39, v40
	v_add_f16_e32 v40, v43, v44
	v_fma_f16 v39, v25, s5, v24
	v_fma_f16 v24, v25, s4, v24
	v_add_f16_e32 v25, v38, v43
	v_fma_f16 v38, v40, -0.5, v38
	v_sub_f16_e32 v40, v26, v27
	v_fma_f16 v59, v40, s4, v38
	v_fma_f16 v38, v40, s5, v38
	v_add_f16_e32 v40, v62, v26
	;; [unrolled: 14-line block ×4, first 2 shown]
	v_add_f16_e32 v17, v17, v18
	v_add_f16_e32 v48, v48, v73
	;; [unrolled: 1-line block ×3, first 2 shown]
	v_fma_f16 v17, v17, -0.5, v68
	v_sub_f16_e32 v18, v47, v41
	v_add_f16_e32 v54, v54, v71
	v_add_f16_e32 v29, v29, v41
	v_fma_f16 v41, v18, s5, v17
	v_fma_f16 v17, v18, s4, v17
	v_pack_b32_f16 v18, v48, v56
	v_pack_b32_f16 v47, v60, v57
	ds_write2_b32 v0, v18, v47 offset1:99
	v_pack_b32_f16 v18, v53, v42
	v_pack_b32_f16 v42, v54, v61
	ds_write2_b32 v36, v18, v42 offset0:70 offset1:169
	v_pack_b32_f16 v18, v63, v58
	v_pack_b32_f16 v22, v55, v22
	ds_write2_b32 v4, v18, v22 offset0:140 offset1:239
	v_lshl_add_u32 v4, v8, 2, 0
	v_pack_b32_f16 v8, v23, v64
	v_pack_b32_f16 v18, v66, v39
	v_add_u32_e32 v22, 0x800, v4
	ds_write2_b32 v22, v8, v18 offset0:82 offset1:181
	v_pack_b32_f16 v8, v37, v24
	ds_write_b32 v4, v8 offset:3168
	v_lshl_add_u32 v4, v11, 2, 0
	v_pack_b32_f16 v8, v25, v40
	v_pack_b32_f16 v11, v59, v43
	v_add_u32_e32 v18, 0xc00, v4
	ds_write2_b32 v18, v8, v11 offset0:123 offset1:222
	v_pack_b32_f16 v8, v38, v26
	ds_write_b32 v4, v8 offset:4356
	;; [unrolled: 7-line block ×4, first 2 shown]
	s_waitcnt lgkmcnt(0)
	s_barrier
	global_load_dwordx2 v[17:18], v[20:21], off offset:1144
	v_lshlrev_b32_e32 v8, 1, v7
	v_lshlrev_b64 v[20:21], 2, v[8:9]
	v_lshlrev_b32_e32 v8, 1, v10
	v_add_co_u32_e64 v20, s[0:1], s12, v20
	v_addc_co_u32_e64 v21, s[0:1], v19, v21, s[0:1]
	global_load_dwordx2 v[20:21], v[20:21], off offset:1144
	v_lshlrev_b64 v[10:11], 2, v[8:9]
	v_add_co_u32_e64 v10, s[0:1], s12, v10
	v_addc_co_u32_e64 v11, s[0:1], v19, v11, s[0:1]
	global_load_dwordx2 v[10:11], v[10:11], off offset:1144
	ds_read_b32 v4, v0
	ds_read_b32 v8, v14 offset:2376
	ds_read_b32 v42, v12
	ds_read_b32 v43, v0 offset:6732
	ds_read2_b32 v[22:23], v16 offset0:70 offset1:169
	ds_read2_b32 v[24:25], v13 offset0:53 offset1:152
	;; [unrolled: 1-line block ×4, first 2 shown]
	s_waitcnt lgkmcnt(6)
	v_lshrrev_b32_e32 v58, 16, v8
	ds_read2_b32 v[36:37], v34 offset0:123 offset1:222
	ds_read2_b32 v[38:39], v32 offset0:77 offset1:176
	;; [unrolled: 1-line block ×3, first 2 shown]
	s_waitcnt lgkmcnt(5)
	v_lshrrev_b32_e32 v47, 16, v25
	s_waitcnt lgkmcnt(4)
	v_lshrrev_b32_e32 v56, 16, v26
	;; [unrolled: 2-line block ×5, first 2 shown]
	v_lshrrev_b32_e32 v53, 16, v37
	v_lshrrev_b32_e32 v54, 16, v39
	;; [unrolled: 1-line block ×7, first 2 shown]
	s_waitcnt lgkmcnt(0)
	v_lshrrev_b32_e32 v52, 16, v40
	v_lshrrev_b32_e32 v55, 16, v41
	s_waitcnt vmcnt(0)
	s_barrier
	v_mul_f16_sdwa v59, v17, v58 dst_sel:DWORD dst_unused:UNUSED_PAD src0_sel:WORD_1 src1_sel:DWORD
	v_fma_f16 v59, v17, v8, -v59
	v_mul_f16_sdwa v8, v17, v8 dst_sel:DWORD dst_unused:UNUSED_PAD src0_sel:WORD_1 src1_sel:DWORD
	v_fma_f16 v8, v17, v58, v8
	v_lshrrev_b32_e32 v58, 16, v27
	v_mul_f16_sdwa v60, v18, v58 dst_sel:DWORD dst_unused:UNUSED_PAD src0_sel:WORD_1 src1_sel:DWORD
	v_fma_f16 v60, v18, v27, -v60
	v_mul_f16_sdwa v27, v18, v27 dst_sel:DWORD dst_unused:UNUSED_PAD src0_sel:WORD_1 src1_sel:DWORD
	v_fma_f16 v27, v18, v58, v27
	v_lshrrev_b32_e32 v58, 16, v24
	;; [unrolled: 5-line block ×3, first 2 shown]
	v_mul_f16_sdwa v62, v21, v58 dst_sel:DWORD dst_unused:UNUSED_PAD src0_sel:WORD_1 src1_sel:DWORD
	v_fma_f16 v62, v21, v28, -v62
	v_mul_f16_sdwa v28, v21, v28 dst_sel:DWORD dst_unused:UNUSED_PAD src0_sel:WORD_1 src1_sel:DWORD
	v_fma_f16 v28, v21, v58, v28
	v_mul_f16_sdwa v58, v47, v10 dst_sel:DWORD dst_unused:UNUSED_PAD src0_sel:DWORD src1_sel:WORD_1
	v_fma_f16 v58, v25, v10, -v58
	v_mul_f16_sdwa v25, v25, v10 dst_sel:DWORD dst_unused:UNUSED_PAD src0_sel:DWORD src1_sel:WORD_1
	v_fma_f16 v25, v47, v10, v25
	v_mul_f16_sdwa v47, v48, v11 dst_sel:DWORD dst_unused:UNUSED_PAD src0_sel:DWORD src1_sel:WORD_1
	v_fma_f16 v47, v29, v11, -v47
	v_mul_f16_sdwa v29, v29, v11 dst_sel:DWORD dst_unused:UNUSED_PAD src0_sel:DWORD src1_sel:WORD_1
	;; [unrolled: 4-line block ×8, first 2 shown]
	v_add_f16_e32 v50, v59, v60
	v_fma_f16 v11, v57, v11, v43
	v_add_f16_e32 v43, v4, v59
	v_fma_f16 v4, v50, -0.5, v4
	v_sub_f16_e32 v50, v8, v27
	v_fma_f16 v51, v50, s4, v4
	v_fma_f16 v4, v50, s5, v4
	v_add_f16_e32 v50, v44, v8
	v_add_f16_e32 v8, v8, v27
	;; [unrolled: 1-line block ×3, first 2 shown]
	v_fma_f16 v8, v8, -0.5, v44
	v_sub_f16_e32 v27, v59, v60
	v_add_f16_e32 v53, v61, v62
	v_fma_f16 v44, v27, s5, v8
	v_fma_f16 v8, v27, s4, v8
	v_add_f16_e32 v27, v42, v61
	v_fma_f16 v42, v53, -0.5, v42
	v_sub_f16_e32 v53, v24, v28
	v_fma_f16 v54, v53, s4, v42
	v_fma_f16 v42, v53, s5, v42
	v_add_f16_e32 v53, v45, v24
	v_add_f16_e32 v24, v24, v28
	;; [unrolled: 1-line block ×3, first 2 shown]
	v_fma_f16 v24, v24, -0.5, v45
	v_sub_f16_e32 v28, v61, v62
	v_add_f16_e32 v56, v58, v47
	v_fma_f16 v45, v28, s5, v24
	v_fma_f16 v24, v28, s4, v24
	v_add_f16_e32 v28, v22, v58
	v_fma_f16 v22, v56, -0.5, v22
	v_sub_f16_e32 v56, v25, v29
	v_fma_f16 v57, v56, s4, v22
	v_fma_f16 v22, v56, s5, v22
	v_add_f16_e32 v56, v46, v25
	v_add_f16_e32 v25, v25, v29
	;; [unrolled: 1-line block ×4, first 2 shown]
	v_fma_f16 v25, v25, -0.5, v46
	v_sub_f16_e32 v29, v58, v47
	v_add_f16_e32 v47, v48, v36
	v_fma_f16 v46, v29, s5, v25
	v_fma_f16 v25, v29, s4, v25
	v_add_f16_e32 v29, v23, v48
	v_fma_f16 v23, v47, -0.5, v23
	v_sub_f16_e32 v47, v17, v18
	v_fma_f16 v58, v47, s4, v23
	v_fma_f16 v23, v47, s5, v23
	v_add_f16_e32 v47, v49, v17
	v_add_f16_e32 v17, v17, v18
	v_add_f16_e32 v47, v47, v18
	v_fma_f16 v17, v17, -0.5, v49
	v_sub_f16_e32 v18, v48, v36
	v_add_f16_e32 v48, v38, v37
	v_add_f16_e32 v29, v29, v36
	v_fma_f16 v36, v18, s5, v17
	v_fma_f16 v17, v18, s4, v17
	v_add_f16_e32 v18, v40, v38
	v_fma_f16 v40, v48, -0.5, v40
	v_sub_f16_e32 v48, v20, v21
	v_fma_f16 v49, v48, s4, v40
	v_fma_f16 v40, v48, s5, v40
	v_add_f16_e32 v48, v52, v20
	v_add_f16_e32 v20, v20, v21
	;; [unrolled: 1-line block ×3, first 2 shown]
	v_fma_f16 v20, v20, -0.5, v52
	v_sub_f16_e32 v21, v38, v37
	v_add_f16_e32 v38, v39, v26
	v_add_f16_e32 v18, v18, v37
	v_fma_f16 v37, v21, s5, v20
	v_fma_f16 v20, v21, s4, v20
	v_add_f16_e32 v21, v41, v39
	v_fma_f16 v38, v38, -0.5, v41
	v_sub_f16_e32 v41, v10, v11
	v_fma_f16 v52, v41, s4, v38
	v_fma_f16 v38, v41, s5, v38
	v_add_f16_e32 v41, v55, v10
	v_add_f16_e32 v10, v10, v11
	;; [unrolled: 1-line block ×4, first 2 shown]
	v_fma_f16 v10, v10, -0.5, v55
	v_sub_f16_e32 v11, v39, v26
	v_add_f16_e32 v27, v27, v62
	v_add_f16_e32 v21, v21, v26
	v_fma_f16 v26, v11, s5, v10
	v_fma_f16 v10, v11, s4, v10
	v_pack_b32_f16 v11, v43, v50
	v_pack_b32_f16 v4, v4, v8
	ds_write_b32 v0, v11
	v_pack_b32_f16 v11, v51, v44
	ds_write_b32 v0, v4 offset:2376
	v_pack_b32_f16 v4, v27, v53
	ds_write_b32 v0, v11 offset:1188
	ds_write_b32 v12, v4
	v_pack_b32_f16 v4, v54, v45
	ds_write_b32 v12, v4 offset:1188
	v_pack_b32_f16 v4, v42, v24
	ds_write_b32 v12, v4 offset:2376
	;; [unrolled: 2-line block ×14, first 2 shown]
	v_mov_b32_e32 v4, v9
	v_lshlrev_b64 v[10:11], 2, v[3:4]
	s_waitcnt lgkmcnt(0)
	v_add_co_u32_e64 v17, s[0:1], s12, v10
	v_addc_co_u32_e64 v18, s[0:1], v19, v11, s[0:1]
	s_barrier
	global_load_dword v4, v[17:18], off offset:3520
	v_add_co_u32_e64 v17, s[0:1], s7, v17
	v_addc_co_u32_e64 v18, s[0:1], 0, v18, s[0:1]
	global_load_dword v27, v[17:18], off offset:216
	global_load_dword v29, v[17:18], off offset:612
	;; [unrolled: 1-line block ×6, first 2 shown]
	v_mov_b32_e32 v8, v9
	v_lshlrev_b64 v[7:8], 2, v[7:8]
	global_load_dword v9, v[17:18], off offset:2592
	v_add_co_u32_e64 v17, s[0:1], s12, v7
	v_addc_co_u32_e64 v18, s[0:1], v19, v8, s[0:1]
	global_load_dword v40, v[17:18], off offset:3520
	ds_read_b32 v28, v0
	ds_read2_b32 v[17:18], v34 offset0:123 offset1:222
	ds_read2_b32 v[19:20], v16 offset0:70 offset1:169
	;; [unrolled: 1-line block ×5, first 2 shown]
	v_cmp_ne_u32_e64 s[0:1], 0, v3
	s_waitcnt vmcnt(8) lgkmcnt(4)
	v_pk_mul_f16 v34, v4, v17 op_sel:[0,1]
	v_pk_fma_f16 v35, v4, v17, v34 op_sel:[0,0,1] op_sel_hi:[1,1,0] neg_lo:[0,0,1] neg_hi:[0,0,1]
	v_pk_fma_f16 v4, v4, v17, v34 op_sel:[0,0,1] op_sel_hi:[1,0,0]
	v_bfi_b32 v4, s6, v35, v4
	v_pk_add_f16 v4, v28, v4 neg_lo:[0,1] neg_hi:[0,1]
	v_pk_fma_f16 v41, v28, 2.0, v4 op_sel_hi:[1,0,1] neg_lo:[0,0,1] neg_hi:[0,0,1]
	s_waitcnt vmcnt(7) lgkmcnt(2)
	v_pk_mul_f16 v28, v27, v21 op_sel:[0,1]
	v_pk_fma_f16 v42, v27, v21, v28 op_sel:[0,0,1] op_sel_hi:[1,1,0] neg_lo:[0,0,1] neg_hi:[0,0,1]
	v_pk_fma_f16 v21, v27, v21, v28 op_sel:[0,0,1] op_sel_hi:[1,0,0]
	ds_read_b32 v17, v14 offset:2376
	ds_read_b32 v34, v12
	ds_read_b32 v35, v0 offset:6732
	v_bfi_b32 v21, s6, v42, v21
	ds_read2_b32 v[27:28], v33 offset0:7 offset1:106
	v_pk_add_f16 v21, v19, v21 neg_lo:[0,1] neg_hi:[0,1]
	v_pk_fma_f16 v42, v19, 2.0, v21 op_sel_hi:[1,0,1] neg_lo:[0,0,1] neg_hi:[0,0,1]
	s_waitcnt vmcnt(6)
	v_pk_mul_f16 v19, v29, v22 op_sel:[0,1]
	v_pk_fma_f16 v43, v29, v22, v19 op_sel:[0,0,1] op_sel_hi:[1,1,0] neg_lo:[0,0,1] neg_hi:[0,0,1]
	v_pk_fma_f16 v19, v29, v22, v19 op_sel:[0,0,1] op_sel_hi:[1,0,0]
	v_bfi_b32 v19, s6, v43, v19
	v_pk_add_f16 v22, v20, v19 neg_lo:[0,1] neg_hi:[0,1]
	s_waitcnt vmcnt(3) lgkmcnt(0)
	v_pk_mul_f16 v19, v27, v38 op_sel:[0,1]
	v_pk_fma_f16 v29, v20, 2.0, v22 op_sel_hi:[1,0,1] neg_lo:[0,0,1] neg_hi:[0,0,1]
	v_pk_fma_f16 v20, v27, v38, v19 op_sel:[0,0,1] op_sel_hi:[1,1,0] neg_lo:[0,0,1] neg_hi:[0,0,1]
	v_pk_fma_f16 v19, v27, v38, v19 op_sel:[0,0,1] op_sel_hi:[1,0,0]
	v_bfi_b32 v19, s6, v20, v19
	v_pk_add_f16 v27, v23, v19 neg_lo:[0,1] neg_hi:[0,1]
	ds_read2_b32 v[19:20], v32 offset0:77 offset1:176
	s_waitcnt vmcnt(2)
	v_pk_mul_f16 v33, v28, v39 op_sel:[0,1]
	v_pk_fma_f16 v38, v28, v39, v33 op_sel:[0,0,1] op_sel_hi:[1,1,0] neg_lo:[0,0,1] neg_hi:[0,0,1]
	v_pk_fma_f16 v28, v28, v39, v33 op_sel:[0,0,1] op_sel_hi:[1,0,0]
	v_bfi_b32 v28, s6, v38, v28
	s_waitcnt lgkmcnt(0)
	v_pk_mul_f16 v32, v19, v36 op_sel:[0,1]
	v_pk_fma_f16 v33, v19, v36, v32 op_sel:[0,0,1] op_sel_hi:[1,1,0] neg_lo:[0,0,1] neg_hi:[0,0,1]
	v_pk_fma_f16 v19, v19, v36, v32 op_sel:[0,0,1] op_sel_hi:[1,0,0]
	v_pk_mul_f16 v32, v20, v37 op_sel:[0,1]
	v_bfi_b32 v19, s6, v33, v19
	v_pk_fma_f16 v33, v20, v37, v32 op_sel:[0,0,1] op_sel_hi:[1,1,0] neg_lo:[0,0,1] neg_hi:[0,0,1]
	v_pk_fma_f16 v20, v20, v37, v32 op_sel:[0,0,1] op_sel_hi:[1,0,0]
	s_waitcnt vmcnt(1)
	v_pk_mul_f16 v32, v35, v9 op_sel:[0,1]
	v_bfi_b32 v20, s6, v33, v20
	v_pk_fma_f16 v33, v35, v9, v32 op_sel:[0,0,1] op_sel_hi:[1,1,0] neg_lo:[0,0,1] neg_hi:[0,0,1]
	v_pk_fma_f16 v9, v35, v9, v32 op_sel:[0,0,1] op_sel_hi:[1,0,0]
	s_waitcnt vmcnt(0)
	v_pk_mul_f16 v32, v40, v18 op_sel:[0,1]
	v_bfi_b32 v9, s6, v33, v9
	v_pk_fma_f16 v33, v40, v18, v32 op_sel:[0,0,1] op_sel_hi:[1,1,0] neg_lo:[0,0,1] neg_hi:[0,0,1]
	v_pk_fma_f16 v18, v40, v18, v32 op_sel:[0,0,1] op_sel_hi:[1,0,0]
	v_bfi_b32 v18, s6, v33, v18
	v_pk_add_f16 v18, v34, v18 neg_lo:[0,1] neg_hi:[0,1]
	v_pk_add_f16 v28, v24, v28 neg_lo:[0,1] neg_hi:[0,1]
	v_pk_fma_f16 v32, v34, 2.0, v18 op_sel_hi:[1,0,1] neg_lo:[0,0,1] neg_hi:[0,0,1]
	s_barrier
	ds_write_b32 v0, v41
	ds_write_b32 v0, v4 offset:3564
	ds_write_b32 v12, v32
	ds_write_b32 v12, v18 offset:3564
	ds_write2_b32 v16, v42, v29 offset0:70 offset1:169
	v_add_u32_e32 v4, 0x1000, v14
	v_pk_fma_f16 v23, v23, 2.0, v27 op_sel_hi:[1,0,1] neg_lo:[0,0,1] neg_hi:[0,0,1]
	v_pk_fma_f16 v24, v24, 2.0, v28 op_sel_hi:[1,0,1] neg_lo:[0,0,1] neg_hi:[0,0,1]
	v_pk_add_f16 v19, v17, v19 neg_lo:[0,1] neg_hi:[0,1]
	v_pk_add_f16 v20, v25, v20 neg_lo:[0,1] neg_hi:[0,1]
	;; [unrolled: 1-line block ×3, first 2 shown]
	ds_write2_b32 v4, v21, v22 offset0:65 offset1:164
	ds_write2_b32 v15, v23, v24 offset0:140 offset1:239
	v_add_u32_e32 v4, 0x1400, v14
	v_pk_fma_f16 v17, v17, 2.0, v19 op_sel_hi:[1,0,1] neg_lo:[0,0,1] neg_hi:[0,0,1]
	v_pk_fma_f16 v25, v25, 2.0, v20 op_sel_hi:[1,0,1] neg_lo:[0,0,1] neg_hi:[0,0,1]
	;; [unrolled: 1-line block ×3, first 2 shown]
	ds_write2_b32 v4, v27, v28 offset0:7 offset1:106
	ds_write_b32 v14, v17 offset:2376
	ds_write_b32 v14, v19 offset:5940
	ds_write2_b32 v13, v25, v26 offset0:53 offset1:152
	ds_write2_b32 v31, v20, v9 offset0:48 offset1:147
	s_waitcnt lgkmcnt(0)
	s_barrier
	ds_read_b32 v16, v0
	s_add_u32 s6, s12, 0x1bac
	v_lshlrev_b32_e32 v4, 2, v3
	s_addc_u32 s7, s13, 0
	v_sub_u32_e32 v4, 0, v4
                                        ; implicit-def: $vgpr14
                                        ; implicit-def: $vgpr9
                                        ; implicit-def: $vgpr13
	s_and_saveexec_b64 s[4:5], s[0:1]
	s_xor_b64 s[4:5], exec, s[4:5]
	s_cbranch_execz .LBB0_17
; %bb.16:
	v_mov_b32_e32 v9, s7
	v_add_co_u32_e64 v13, s[0:1], s6, v10
	v_addc_co_u32_e64 v14, s[0:1], v9, v11, s[0:1]
	global_load_dword v9, v[13:14], off
	ds_read_b32 v13, v4 offset:7128
	s_mov_b32 s0, 0xffff
	s_waitcnt lgkmcnt(0)
	v_pk_add_f16 v14, v16, v13 neg_lo:[0,1] neg_hi:[0,1]
	v_pk_add_f16 v13, v13, v16
	v_bfi_b32 v15, s0, v14, v13
	v_bfi_b32 v13, s0, v13, v14
	v_pk_mul_f16 v14, v15, 0.5 op_sel_hi:[1,0]
	v_pk_mul_f16 v15, v13, 0.5 op_sel_hi:[1,0]
	s_waitcnt vmcnt(0)
	v_pk_mul_f16 v16, v9, v14 op_sel:[1,0]
	v_pk_mul_f16 v17, v9, v14 op_sel_hi:[0,1]
	v_pk_fma_f16 v9, v13, 0.5, v16 op_sel_hi:[1,0,1]
	v_sub_f16_e32 v13, v15, v16
	v_sub_f16_sdwa v15, v16, v15 dst_sel:DWORD dst_unused:UNUSED_PAD src0_sel:WORD_1 src1_sel:WORD_1
	v_pk_add_f16 v14, v9, v17 op_sel:[0,1] op_sel_hi:[1,0]
	v_pk_add_f16 v16, v9, v17 op_sel:[0,1] op_sel_hi:[1,0] neg_lo:[0,1] neg_hi:[0,1]
	v_sub_f16_sdwa v9, v13, v17 dst_sel:DWORD dst_unused:UNUSED_PAD src0_sel:DWORD src1_sel:WORD_1
	v_bfi_b32 v14, s0, v14, v16
	v_sub_f16_e32 v13, v15, v17
                                        ; implicit-def: $vgpr16
.LBB0_17:
	s_or_saveexec_b64 s[0:1], s[4:5]
	v_mul_i32_i24_e32 v15, 0xffffffd8, v3
	s_xor_b64 exec, exec, s[0:1]
	s_cbranch_execz .LBB0_19
; %bb.18:
	v_mov_b32_e32 v13, 0
	ds_read_u16 v14, v13 offset:3566
	s_waitcnt lgkmcnt(1)
	v_alignbit_b32 v17, s0, v16, 16
	v_sub_f16_sdwa v9, v16, v16 dst_sel:DWORD dst_unused:UNUSED_PAD src0_sel:DWORD src1_sel:WORD_1
	v_pk_add_f16 v16, v17, v16
	s_waitcnt lgkmcnt(0)
	v_xor_b32_e32 v14, 0x8000, v14
	ds_write_b16 v13, v14 offset:3566
	v_pack_b32_f16 v14, v16, 0
.LBB0_19:
	s_or_b64 exec, exec, s[0:1]
	s_waitcnt lgkmcnt(0)
	v_mov_b32_e32 v16, s7
	v_add_co_u32_e64 v7, s[0:1], s6, v7
	v_addc_co_u32_e64 v8, s[0:1], v16, v8, s[0:1]
	global_load_dword v16, v[7:8], off
	v_mov_b32_e32 v8, s7
	v_add_co_u32_e64 v7, s[0:1], s6, v10
	v_addc_co_u32_e64 v8, s[0:1], v8, v11, s[0:1]
	global_load_dword v10, v[7:8], off offset:792
	global_load_dword v11, v[7:8], off offset:1188
	ds_write_b16 v4, v13 offset:7130
	ds_write_b32 v0, v14
	ds_write_b16 v4, v9 offset:7128
	v_add_u32_e32 v9, v30, v15
	ds_read_b32 v13, v12
	ds_read_b32 v14, v4 offset:6732
	global_load_dword v15, v[7:8], off offset:1584
	global_load_dword v17, v[7:8], off offset:1980
	;; [unrolled: 1-line block ×5, first 2 shown]
	s_mov_b32 s0, 0xffff
	s_waitcnt lgkmcnt(0)
	v_pk_add_f16 v7, v13, v14 neg_lo:[0,1] neg_hi:[0,1]
	v_pk_add_f16 v8, v13, v14
	v_bfi_b32 v13, s0, v7, v8
	v_bfi_b32 v7, s0, v8, v7
	v_pk_mul_f16 v8, v13, 0.5 op_sel_hi:[1,0]
	v_pk_mul_f16 v7, v7, 0.5 op_sel_hi:[1,0]
	s_waitcnt vmcnt(7)
	v_pk_fma_f16 v13, v16, v8, v7 op_sel:[1,0,0]
	v_pk_mul_f16 v14, v16, v8 op_sel_hi:[0,1]
	v_pk_fma_f16 v21, v16, v8, v7 op_sel:[1,0,0] neg_lo:[1,0,0] neg_hi:[1,0,0]
	v_pk_fma_f16 v7, v16, v8, v7 op_sel:[1,0,0] neg_lo:[0,0,1] neg_hi:[0,0,1]
	v_pk_add_f16 v8, v13, v14 op_sel:[0,1] op_sel_hi:[1,0]
	v_pk_add_f16 v13, v13, v14 op_sel:[0,1] op_sel_hi:[1,0] neg_lo:[0,1] neg_hi:[0,1]
	v_pk_add_f16 v16, v21, v14 op_sel:[0,1] op_sel_hi:[1,0] neg_lo:[0,1] neg_hi:[0,1]
	;; [unrolled: 1-line block ×3, first 2 shown]
	v_bfi_b32 v8, s0, v8, v13
	v_bfi_b32 v7, s0, v16, v7
	ds_write_b32 v12, v8
	ds_write_b32 v4, v7 offset:6732
	ds_read_b32 v7, v9 offset:792
	ds_read_b32 v8, v4 offset:6336
	s_waitcnt lgkmcnt(0)
	v_pk_add_f16 v12, v7, v8 neg_lo:[0,1] neg_hi:[0,1]
	v_pk_add_f16 v7, v7, v8
	v_bfi_b32 v8, s0, v12, v7
	v_bfi_b32 v7, s0, v7, v12
	v_pk_mul_f16 v8, v8, 0.5 op_sel_hi:[1,0]
	v_pk_mul_f16 v12, v7, 0.5 op_sel_hi:[1,0]
	s_waitcnt vmcnt(6)
	v_pk_mul_f16 v13, v10, v8 op_sel:[1,0]
	v_pk_mul_f16 v8, v10, v8 op_sel_hi:[0,1]
	v_pk_fma_f16 v7, v7, 0.5, v13 op_sel_hi:[1,0,1]
	v_sub_f16_e32 v10, v12, v13
	v_sub_f16_sdwa v12, v13, v12 dst_sel:DWORD dst_unused:UNUSED_PAD src0_sel:WORD_1 src1_sel:WORD_1
	v_pk_add_f16 v13, v7, v8 op_sel:[0,1] op_sel_hi:[1,0]
	v_pk_add_f16 v7, v7, v8 op_sel:[0,1] op_sel_hi:[1,0] neg_lo:[0,1] neg_hi:[0,1]
	v_sub_f16_sdwa v10, v10, v8 dst_sel:DWORD dst_unused:UNUSED_PAD src0_sel:DWORD src1_sel:WORD_1
	v_sub_f16_e32 v8, v12, v8
	v_bfi_b32 v7, s0, v13, v7
	ds_write_b16 v4, v8 offset:6338
	ds_write_b32 v9, v7 offset:792
	ds_write_b16 v4, v10 offset:6336
	ds_read_b32 v7, v9 offset:1188
	ds_read_b32 v8, v4 offset:5940
	s_waitcnt lgkmcnt(0)
	v_pk_add_f16 v10, v7, v8 neg_lo:[0,1] neg_hi:[0,1]
	v_pk_add_f16 v7, v7, v8
	v_bfi_b32 v8, s0, v10, v7
	v_bfi_b32 v7, s0, v7, v10
	v_pk_mul_f16 v8, v8, 0.5 op_sel_hi:[1,0]
	v_pk_mul_f16 v10, v7, 0.5 op_sel_hi:[1,0]
	s_waitcnt vmcnt(5)
	v_pk_mul_f16 v12, v11, v8 op_sel:[1,0]
	v_pk_mul_f16 v8, v11, v8 op_sel_hi:[0,1]
	v_pk_fma_f16 v7, v7, 0.5, v12 op_sel_hi:[1,0,1]
	v_sub_f16_e32 v11, v10, v12
	v_sub_f16_sdwa v10, v12, v10 dst_sel:DWORD dst_unused:UNUSED_PAD src0_sel:WORD_1 src1_sel:WORD_1
	v_pk_add_f16 v12, v7, v8 op_sel:[0,1] op_sel_hi:[1,0]
	v_pk_add_f16 v7, v7, v8 op_sel:[0,1] op_sel_hi:[1,0] neg_lo:[0,1] neg_hi:[0,1]
	v_sub_f16_sdwa v11, v11, v8 dst_sel:DWORD dst_unused:UNUSED_PAD src0_sel:DWORD src1_sel:WORD_1
	v_sub_f16_e32 v8, v10, v8
	v_bfi_b32 v7, s0, v12, v7
	ds_write_b16 v4, v8 offset:5942
	ds_write_b32 v9, v7 offset:1188
	ds_write_b16 v4, v11 offset:5940
	;; [unrolled: 23-line block ×5, first 2 shown]
	ds_read_b32 v7, v0 offset:2772
	ds_read_b32 v8, v4 offset:4356
	s_waitcnt lgkmcnt(0)
	v_pk_add_f16 v9, v7, v8 neg_lo:[0,1] neg_hi:[0,1]
	v_pk_add_f16 v7, v7, v8
	v_bfi_b32 v8, s0, v9, v7
	v_bfi_b32 v7, s0, v7, v9
	v_pk_mul_f16 v8, v8, 0.5 op_sel_hi:[1,0]
	v_pk_mul_f16 v7, v7, 0.5 op_sel_hi:[1,0]
	s_waitcnt vmcnt(1)
	v_pk_fma_f16 v9, v19, v8, v7 op_sel:[1,0,0]
	v_pk_mul_f16 v10, v19, v8 op_sel_hi:[0,1]
	v_pk_fma_f16 v11, v19, v8, v7 op_sel:[1,0,0] neg_lo:[1,0,0] neg_hi:[1,0,0]
	v_pk_fma_f16 v7, v19, v8, v7 op_sel:[1,0,0] neg_lo:[0,0,1] neg_hi:[0,0,1]
	v_pk_add_f16 v12, v9, v10 op_sel:[0,1] op_sel_hi:[1,0]
	v_pk_add_f16 v9, v9, v10 op_sel:[0,1] op_sel_hi:[1,0] neg_lo:[0,1] neg_hi:[0,1]
	v_pk_add_f16 v11, v11, v10 op_sel:[0,1] op_sel_hi:[1,0] neg_lo:[0,1] neg_hi:[0,1]
	;; [unrolled: 1-line block ×3, first 2 shown]
	v_bfi_b32 v9, s0, v12, v9
	v_bfi_b32 v7, s0, v11, v7
	ds_write_b32 v0, v9 offset:2772
	ds_write_b32 v4, v7 offset:4356
	ds_read_b32 v7, v0 offset:3168
	ds_read_b32 v8, v4 offset:3960
	s_waitcnt lgkmcnt(0)
	v_pk_add_f16 v9, v7, v8 neg_lo:[0,1] neg_hi:[0,1]
	v_pk_add_f16 v7, v7, v8
	v_bfi_b32 v8, s0, v9, v7
	v_bfi_b32 v7, s0, v7, v9
	v_pk_mul_f16 v8, v8, 0.5 op_sel_hi:[1,0]
	v_pk_mul_f16 v7, v7, 0.5 op_sel_hi:[1,0]
	s_waitcnt vmcnt(0)
	v_pk_fma_f16 v9, v20, v8, v7 op_sel:[1,0,0]
	v_pk_mul_f16 v10, v20, v8 op_sel_hi:[0,1]
	v_pk_add_f16 v11, v9, v10 op_sel:[0,1] op_sel_hi:[1,0]
	v_pk_add_f16 v9, v9, v10 op_sel:[0,1] op_sel_hi:[1,0] neg_lo:[0,1] neg_hi:[0,1]
	v_bfi_b32 v9, s0, v11, v9
	v_pk_fma_f16 v11, v20, v8, v7 op_sel:[1,0,0] neg_lo:[1,0,0] neg_hi:[1,0,0]
	v_pk_fma_f16 v7, v20, v8, v7 op_sel:[1,0,0] neg_lo:[0,0,1] neg_hi:[0,0,1]
	v_pk_add_f16 v11, v11, v10 op_sel:[0,1] op_sel_hi:[1,0] neg_lo:[0,1] neg_hi:[0,1]
	v_pk_add_f16 v7, v7, v10 op_sel:[0,1] op_sel_hi:[1,0] neg_lo:[0,1] neg_hi:[0,1]
	ds_write_b32 v0, v9 offset:3168
	v_bfi_b32 v0, s0, v11, v7
	ds_write_b32 v4, v0 offset:3960
	s_waitcnt lgkmcnt(0)
	s_barrier
	s_and_saveexec_b64 s[0:1], vcc
	s_cbranch_execz .LBB0_22
; %bb.20:
	v_mul_lo_u32 v0, s3, v5
	v_mul_lo_u32 v4, s2, v6
	v_mad_u64_u32 v[5:6], s[0:1], s2, v5, 0
	v_lshl_add_u32 v9, v3, 2, 0
	v_lshlrev_b64 v[1:2], 2, v[1:2]
	v_add3_u32 v6, v6, v4, v0
	v_lshlrev_b64 v[5:6], 2, v[5:6]
	v_mov_b32_e32 v0, s11
	v_add_co_u32_e32 v5, vcc, s10, v5
	v_mov_b32_e32 v4, 0
	ds_read2_b32 v[7:8], v9 offset1:99
	v_addc_co_u32_e32 v0, vcc, v0, v6, vcc
	v_add_co_u32_e32 v1, vcc, v5, v1
	v_lshlrev_b64 v[5:6], 2, v[3:4]
	v_addc_co_u32_e32 v0, vcc, v0, v2, vcc
	v_add_co_u32_e32 v5, vcc, v1, v5
	v_addc_co_u32_e32 v6, vcc, v0, v6, vcc
	s_waitcnt lgkmcnt(0)
	global_store_dword v[5:6], v7, off
	v_add_u32_e32 v5, 0x63, v3
	v_mov_b32_e32 v6, v4
	v_lshlrev_b64 v[5:6], 2, v[5:6]
	v_add_u32_e32 v2, 0x200, v9
	v_add_co_u32_e32 v5, vcc, v1, v5
	v_addc_co_u32_e32 v6, vcc, v0, v6, vcc
	global_store_dword v[5:6], v8, off
	v_add_u32_e32 v5, 0xc6, v3
	v_mov_b32_e32 v6, v4
	ds_read2_b32 v[7:8], v2 offset0:70 offset1:169
	v_lshlrev_b64 v[5:6], 2, v[5:6]
	v_add_u32_e32 v2, 0x400, v9
	v_add_co_u32_e32 v5, vcc, v1, v5
	v_addc_co_u32_e32 v6, vcc, v0, v6, vcc
	s_waitcnt lgkmcnt(0)
	global_store_dword v[5:6], v7, off
	v_add_u32_e32 v5, 0x129, v3
	v_mov_b32_e32 v6, v4
	v_lshlrev_b64 v[5:6], 2, v[5:6]
	s_movk_i32 s0, 0x62
	v_add_co_u32_e32 v5, vcc, v1, v5
	v_addc_co_u32_e32 v6, vcc, v0, v6, vcc
	global_store_dword v[5:6], v8, off
	v_add_u32_e32 v5, 0x18c, v3
	v_mov_b32_e32 v6, v4
	ds_read2_b32 v[7:8], v2 offset0:140 offset1:239
	v_lshlrev_b64 v[5:6], 2, v[5:6]
	v_add_u32_e32 v2, 0x800, v9
	v_add_co_u32_e32 v5, vcc, v1, v5
	v_addc_co_u32_e32 v6, vcc, v0, v6, vcc
	s_waitcnt lgkmcnt(0)
	global_store_dword v[5:6], v7, off
	v_add_u32_e32 v5, 0x1ef, v3
	v_mov_b32_e32 v6, v4
	v_lshlrev_b64 v[5:6], 2, v[5:6]
	v_add_co_u32_e32 v5, vcc, v1, v5
	v_addc_co_u32_e32 v6, vcc, v0, v6, vcc
	global_store_dword v[5:6], v8, off
	v_add_u32_e32 v5, 0x252, v3
	v_mov_b32_e32 v6, v4
	ds_read2_b32 v[7:8], v2 offset0:82 offset1:181
	v_lshlrev_b64 v[5:6], 2, v[5:6]
	v_add_u32_e32 v2, 0xc00, v9
	v_add_co_u32_e32 v5, vcc, v1, v5
	v_addc_co_u32_e32 v6, vcc, v0, v6, vcc
	s_waitcnt lgkmcnt(0)
	global_store_dword v[5:6], v7, off
	v_add_u32_e32 v5, 0x2b5, v3
	v_mov_b32_e32 v6, v4
	v_lshlrev_b64 v[5:6], 2, v[5:6]
	v_add_co_u32_e32 v5, vcc, v1, v5
	v_addc_co_u32_e32 v6, vcc, v0, v6, vcc
	global_store_dword v[5:6], v8, off
	v_add_u32_e32 v5, 0x318, v3
	v_mov_b32_e32 v6, v4
	ds_read2_b32 v[7:8], v2 offset0:24 offset1:123
	v_lshlrev_b64 v[5:6], 2, v[5:6]
	v_add_u32_e32 v2, 0xe00, v9
	v_add_co_u32_e32 v5, vcc, v1, v5
	v_addc_co_u32_e32 v6, vcc, v0, v6, vcc
	s_waitcnt lgkmcnt(0)
	global_store_dword v[5:6], v7, off
	v_add_u32_e32 v5, 0x37b, v3
	v_mov_b32_e32 v6, v4
	v_lshlrev_b64 v[5:6], 2, v[5:6]
	v_add_co_u32_e32 v5, vcc, v1, v5
	v_addc_co_u32_e32 v6, vcc, v0, v6, vcc
	global_store_dword v[5:6], v8, off
	v_add_u32_e32 v5, 0x3de, v3
	v_mov_b32_e32 v6, v4
	ds_read2_b32 v[7:8], v2 offset0:94 offset1:193
	v_lshlrev_b64 v[5:6], 2, v[5:6]
	v_add_u32_e32 v2, 0x1200, v9
	v_add_co_u32_e32 v5, vcc, v1, v5
	v_addc_co_u32_e32 v6, vcc, v0, v6, vcc
	s_waitcnt lgkmcnt(0)
	global_store_dword v[5:6], v7, off
	v_add_u32_e32 v5, 0x441, v3
	v_mov_b32_e32 v6, v4
	v_lshlrev_b64 v[5:6], 2, v[5:6]
	v_add_co_u32_e32 v5, vcc, v1, v5
	v_addc_co_u32_e32 v6, vcc, v0, v6, vcc
	global_store_dword v[5:6], v8, off
	v_add_u32_e32 v5, 0x4a4, v3
	v_mov_b32_e32 v6, v4
	ds_read2_b32 v[7:8], v2 offset0:36 offset1:135
	v_lshlrev_b64 v[5:6], 2, v[5:6]
	v_add_u32_e32 v2, 0x1400, v9
	v_add_co_u32_e32 v5, vcc, v1, v5
	v_addc_co_u32_e32 v6, vcc, v0, v6, vcc
	s_waitcnt lgkmcnt(0)
	global_store_dword v[5:6], v7, off
	v_add_u32_e32 v5, 0x507, v3
	v_mov_b32_e32 v6, v4
	v_lshlrev_b64 v[5:6], 2, v[5:6]
	v_add_co_u32_e32 v5, vcc, v1, v5
	v_addc_co_u32_e32 v6, vcc, v0, v6, vcc
	global_store_dword v[5:6], v8, off
	v_add_u32_e32 v5, 0x56a, v3
	v_mov_b32_e32 v6, v4
	ds_read2_b32 v[7:8], v2 offset0:106 offset1:205
	v_lshlrev_b64 v[5:6], 2, v[5:6]
	v_add_u32_e32 v2, 0x1800, v9
	v_add_co_u32_e32 v5, vcc, v1, v5
	v_addc_co_u32_e32 v6, vcc, v0, v6, vcc
	s_waitcnt lgkmcnt(0)
	global_store_dword v[5:6], v7, off
	v_add_u32_e32 v5, 0x5cd, v3
	v_mov_b32_e32 v6, v4
	v_lshlrev_b64 v[5:6], 2, v[5:6]
	v_add_co_u32_e32 v5, vcc, v1, v5
	v_addc_co_u32_e32 v6, vcc, v0, v6, vcc
	global_store_dword v[5:6], v8, off
	v_add_u32_e32 v5, 0x630, v3
	v_mov_b32_e32 v6, v4
	ds_read2_b32 v[7:8], v2 offset0:48 offset1:147
	v_lshlrev_b64 v[5:6], 2, v[5:6]
	v_add_co_u32_e32 v5, vcc, v1, v5
	v_addc_co_u32_e32 v6, vcc, v0, v6, vcc
	s_waitcnt lgkmcnt(0)
	global_store_dword v[5:6], v7, off
	v_add_u32_e32 v5, 0x693, v3
	v_mov_b32_e32 v6, v4
	v_lshlrev_b64 v[5:6], 2, v[5:6]
	v_add_co_u32_e32 v5, vcc, v1, v5
	v_addc_co_u32_e32 v6, vcc, v0, v6, vcc
	v_cmp_eq_u32_e32 vcc, s0, v3
	global_store_dword v[5:6], v8, off
	s_and_b64 exec, exec, vcc
	s_cbranch_execz .LBB0_22
; %bb.21:
	ds_read_b32 v3, v4 offset:7128
	v_add_co_u32_e32 v1, vcc, 0x1000, v1
	v_addc_co_u32_e32 v2, vcc, 0, v0, vcc
	s_waitcnt lgkmcnt(0)
	global_store_dword v[1:2], v3, off offset:3032
.LBB0_22:
	s_endpgm
	.section	.rodata,"a",@progbits
	.p2align	6, 0x0
	.amdhsa_kernel fft_rtc_fwd_len1782_factors_11_3_3_3_3_2_wgs_99_tpt_99_halfLds_half_op_CI_CI_unitstride_sbrr_R2C_dirReg
		.amdhsa_group_segment_fixed_size 0
		.amdhsa_private_segment_fixed_size 0
		.amdhsa_kernarg_size 104
		.amdhsa_user_sgpr_count 6
		.amdhsa_user_sgpr_private_segment_buffer 1
		.amdhsa_user_sgpr_dispatch_ptr 0
		.amdhsa_user_sgpr_queue_ptr 0
		.amdhsa_user_sgpr_kernarg_segment_ptr 1
		.amdhsa_user_sgpr_dispatch_id 0
		.amdhsa_user_sgpr_flat_scratch_init 0
		.amdhsa_user_sgpr_private_segment_size 0
		.amdhsa_uses_dynamic_stack 0
		.amdhsa_system_sgpr_private_segment_wavefront_offset 0
		.amdhsa_system_sgpr_workgroup_id_x 1
		.amdhsa_system_sgpr_workgroup_id_y 0
		.amdhsa_system_sgpr_workgroup_id_z 0
		.amdhsa_system_sgpr_workgroup_info 0
		.amdhsa_system_vgpr_workitem_id 0
		.amdhsa_next_free_vgpr 83
		.amdhsa_next_free_sgpr 37
		.amdhsa_reserve_vcc 1
		.amdhsa_reserve_flat_scratch 0
		.amdhsa_float_round_mode_32 0
		.amdhsa_float_round_mode_16_64 0
		.amdhsa_float_denorm_mode_32 3
		.amdhsa_float_denorm_mode_16_64 3
		.amdhsa_dx10_clamp 1
		.amdhsa_ieee_mode 1
		.amdhsa_fp16_overflow 0
		.amdhsa_exception_fp_ieee_invalid_op 0
		.amdhsa_exception_fp_denorm_src 0
		.amdhsa_exception_fp_ieee_div_zero 0
		.amdhsa_exception_fp_ieee_overflow 0
		.amdhsa_exception_fp_ieee_underflow 0
		.amdhsa_exception_fp_ieee_inexact 0
		.amdhsa_exception_int_div_zero 0
	.end_amdhsa_kernel
	.text
.Lfunc_end0:
	.size	fft_rtc_fwd_len1782_factors_11_3_3_3_3_2_wgs_99_tpt_99_halfLds_half_op_CI_CI_unitstride_sbrr_R2C_dirReg, .Lfunc_end0-fft_rtc_fwd_len1782_factors_11_3_3_3_3_2_wgs_99_tpt_99_halfLds_half_op_CI_CI_unitstride_sbrr_R2C_dirReg
                                        ; -- End function
	.section	.AMDGPU.csdata,"",@progbits
; Kernel info:
; codeLenInByte = 15964
; NumSgprs: 41
; NumVgprs: 83
; ScratchSize: 0
; MemoryBound: 0
; FloatMode: 240
; IeeeMode: 1
; LDSByteSize: 0 bytes/workgroup (compile time only)
; SGPRBlocks: 5
; VGPRBlocks: 20
; NumSGPRsForWavesPerEU: 41
; NumVGPRsForWavesPerEU: 83
; Occupancy: 3
; WaveLimiterHint : 1
; COMPUTE_PGM_RSRC2:SCRATCH_EN: 0
; COMPUTE_PGM_RSRC2:USER_SGPR: 6
; COMPUTE_PGM_RSRC2:TRAP_HANDLER: 0
; COMPUTE_PGM_RSRC2:TGID_X_EN: 1
; COMPUTE_PGM_RSRC2:TGID_Y_EN: 0
; COMPUTE_PGM_RSRC2:TGID_Z_EN: 0
; COMPUTE_PGM_RSRC2:TIDIG_COMP_CNT: 0
	.type	__hip_cuid_11988a4ca017f778,@object ; @__hip_cuid_11988a4ca017f778
	.section	.bss,"aw",@nobits
	.globl	__hip_cuid_11988a4ca017f778
__hip_cuid_11988a4ca017f778:
	.byte	0                               ; 0x0
	.size	__hip_cuid_11988a4ca017f778, 1

	.ident	"AMD clang version 19.0.0git (https://github.com/RadeonOpenCompute/llvm-project roc-6.4.0 25133 c7fe45cf4b819c5991fe208aaa96edf142730f1d)"
	.section	".note.GNU-stack","",@progbits
	.addrsig
	.addrsig_sym __hip_cuid_11988a4ca017f778
	.amdgpu_metadata
---
amdhsa.kernels:
  - .args:
      - .actual_access:  read_only
        .address_space:  global
        .offset:         0
        .size:           8
        .value_kind:     global_buffer
      - .offset:         8
        .size:           8
        .value_kind:     by_value
      - .actual_access:  read_only
        .address_space:  global
        .offset:         16
        .size:           8
        .value_kind:     global_buffer
      - .actual_access:  read_only
        .address_space:  global
        .offset:         24
        .size:           8
        .value_kind:     global_buffer
      - .actual_access:  read_only
        .address_space:  global
        .offset:         32
        .size:           8
        .value_kind:     global_buffer
      - .offset:         40
        .size:           8
        .value_kind:     by_value
      - .actual_access:  read_only
        .address_space:  global
        .offset:         48
        .size:           8
        .value_kind:     global_buffer
      - .actual_access:  read_only
        .address_space:  global
        .offset:         56
        .size:           8
        .value_kind:     global_buffer
      - .offset:         64
        .size:           4
        .value_kind:     by_value
      - .actual_access:  read_only
        .address_space:  global
        .offset:         72
        .size:           8
        .value_kind:     global_buffer
      - .actual_access:  read_only
        .address_space:  global
        .offset:         80
        .size:           8
        .value_kind:     global_buffer
      - .actual_access:  read_only
        .address_space:  global
        .offset:         88
        .size:           8
        .value_kind:     global_buffer
      - .actual_access:  write_only
        .address_space:  global
        .offset:         96
        .size:           8
        .value_kind:     global_buffer
    .group_segment_fixed_size: 0
    .kernarg_segment_align: 8
    .kernarg_segment_size: 104
    .language:       OpenCL C
    .language_version:
      - 2
      - 0
    .max_flat_workgroup_size: 99
    .name:           fft_rtc_fwd_len1782_factors_11_3_3_3_3_2_wgs_99_tpt_99_halfLds_half_op_CI_CI_unitstride_sbrr_R2C_dirReg
    .private_segment_fixed_size: 0
    .sgpr_count:     41
    .sgpr_spill_count: 0
    .symbol:         fft_rtc_fwd_len1782_factors_11_3_3_3_3_2_wgs_99_tpt_99_halfLds_half_op_CI_CI_unitstride_sbrr_R2C_dirReg.kd
    .uniform_work_group_size: 1
    .uses_dynamic_stack: false
    .vgpr_count:     83
    .vgpr_spill_count: 0
    .wavefront_size: 64
amdhsa.target:   amdgcn-amd-amdhsa--gfx906
amdhsa.version:
  - 1
  - 2
...

	.end_amdgpu_metadata
